;; amdgpu-corpus repo=ROCm/rocFFT kind=compiled arch=gfx950 opt=O3
	.text
	.amdgcn_target "amdgcn-amd-amdhsa--gfx950"
	.amdhsa_code_object_version 6
	.protected	bluestein_single_fwd_len924_dim1_dp_op_CI_CI ; -- Begin function bluestein_single_fwd_len924_dim1_dp_op_CI_CI
	.globl	bluestein_single_fwd_len924_dim1_dp_op_CI_CI
	.p2align	8
	.type	bluestein_single_fwd_len924_dim1_dp_op_CI_CI,@function
bluestein_single_fwd_len924_dim1_dp_op_CI_CI: ; @bluestein_single_fwd_len924_dim1_dp_op_CI_CI
; %bb.0:
	s_load_dwordx4 s[8:11], s[0:1], 0x28
	v_mul_u32_u24_e32 v1, 0x5d2, v0
	v_mov_b32_e32 v181, 0
	v_add_u32_sdwa v206, s2, v1 dst_sel:DWORD dst_unused:UNUSED_PAD src0_sel:DWORD src1_sel:WORD_1
	v_mov_b32_e32 v207, v181
	s_waitcnt lgkmcnt(0)
	v_cmp_gt_u64_e32 vcc, s[8:9], v[206:207]
	s_and_saveexec_b64 s[2:3], vcc
	s_cbranch_execz .LBB0_31
; %bb.1:
	s_load_dwordx4 s[4:7], s[0:1], 0x18
	s_load_dwordx2 s[14:15], s[0:1], 0x0
	v_mov_b32_e32 v2, s10
	v_mov_b32_e32 v3, s11
	;; [unrolled: 1-line block ×3, first 2 shown]
	s_waitcnt lgkmcnt(0)
	s_load_dwordx4 s[8:11], s[4:5], 0x0
	v_mul_lo_u16_sdwa v1, v1, v4 dst_sel:DWORD dst_unused:UNUSED_PAD src0_sel:WORD_1 src1_sel:DWORD
	v_sub_u16_e32 v180, v0, v1
	v_lshlrev_b32_e32 v78, 4, v180
	v_mov_b32_e32 v79, v181
	s_waitcnt lgkmcnt(0)
	v_mad_u64_u32 v[0:1], s[2:3], s10, v206, 0
	v_mov_b32_e32 v4, v1
	v_mad_u64_u32 v[4:5], s[2:3], s11, v206, v[4:5]
	v_mov_b32_e32 v1, v4
	v_mad_u64_u32 v[4:5], s[2:3], s8, v180, 0
	v_mov_b32_e32 v6, v5
	v_mad_u64_u32 v[6:7], s[2:3], s9, v180, v[6:7]
	v_lshl_add_u64 v[214:215], s[14:15], 0, v[78:79]
	s_mul_i32 s2, s9, 0x1ce
	s_mul_hi_u32 s3, s8, 0x1ce
	s_movk_i32 s10, 0x1000
	v_mov_b32_e32 v5, v6
	v_lshl_add_u64 v[0:1], v[0:1], 4, v[2:3]
	s_add_i32 s3, s3, s2
	s_mul_i32 s2, s8, 0x1ce
	v_add_co_u32_e32 v40, vcc, s10, v214
	v_lshl_add_u64 v[0:1], v[4:5], 4, v[0:1]
	global_load_dwordx4 v[186:189], v78, s[14:15]
	s_lshl_b64 s[4:5], s[2:3], 4
	v_addc_co_u32_e32 v41, vcc, 0, v215, vcc
	v_lshl_add_u64 v[2:3], v[0:1], 0, s[4:5]
	global_load_dwordx4 v[20:23], v[0:1], off
	global_load_dwordx4 v[8:11], v[2:3], off
	global_load_dwordx4 v[182:185], v[40:41], off offset:3296
	s_mul_hi_u32 s10, s8, 0xfffffe5e
	s_mulk_i32 s9, 0xfe5e
	s_sub_i32 s10, s10, s8
	s_add_i32 s17, s10, s9
	s_mul_i32 s16, s8, 0xfffffe5e
	s_lshl_b64 s[18:19], s[16:17], 4
	v_lshl_add_u64 v[0:1], v[2:3], 0, s[18:19]
	global_load_dwordx4 v[4:7], v[0:1], off
	global_load_dwordx4 v[74:77], v78, s[14:15] offset:704
	v_lshl_add_u64 v[12:13], v[0:1], 0, s[4:5]
	global_load_dwordx4 v[96:99], v[40:41], off offset:4000
	global_load_dwordx4 v[0:3], v[12:13], off
	s_movk_i32 s8, 0x2000
	v_lshl_add_u64 v[16:17], v[12:13], 0, s[18:19]
	global_load_dwordx4 v[92:95], v78, s[14:15] offset:1408
	global_load_dwordx4 v[12:15], v[16:17], off
	v_add_co_u32_e32 v42, vcc, s8, v214
	v_lshl_add_u64 v[24:25], v[16:17], 0, s[4:5]
	s_nop 0
	v_addc_co_u32_e32 v43, vcc, 0, v215, vcc
	global_load_dwordx4 v[194:197], v[42:43], off offset:608
	global_load_dwordx4 v[16:19], v[24:25], off
	global_load_dwordx4 v[88:91], v78, s[14:15] offset:2112
	v_lshl_add_u64 v[28:29], v[24:25], 0, s[18:19]
	global_load_dwordx4 v[24:27], v[28:29], off
	global_load_dwordx4 v[108:111], v[42:43], off offset:1312
	v_lshl_add_u64 v[32:33], v[28:29], 0, s[4:5]
	global_load_dwordx4 v[28:31], v[32:33], off
	v_lshl_add_u64 v[36:37], v[32:33], 0, s[18:19]
	global_load_dwordx4 v[32:35], v[36:37], off
	global_load_dwordx4 v[198:201], v78, s[14:15] offset:2816
	v_lshl_add_u64 v[44:45], v[36:37], 0, s[4:5]
	v_lshl_add_u64 v[46:47], v[44:45], 0, s[18:19]
	s_load_dwordx4 s[8:11], s[6:7], 0x0
	global_load_dwordx4 v[84:87], v78, s[14:15] offset:3520
	global_load_dwordx4 v[36:39], v[44:45], off
	global_load_dwordx4 v[100:103], v[42:43], off offset:2016
	global_load_dwordx4 v[104:107], v[42:43], off offset:2720
	;; [unrolled: 1-line block ×3, first 2 shown]
	v_lshl_add_u64 v[50:51], v[46:47], 0, s[4:5]
	global_load_dwordx4 v[42:45], v[46:47], off
	v_lshl_add_u64 v[54:55], v[50:51], 0, s[18:19]
	global_load_dwordx4 v[46:49], v[50:51], off
	global_load_dwordx4 v[128:131], v[40:41], off offset:128
	v_lshl_add_u64 v[58:59], v[54:55], 0, s[4:5]
	global_load_dwordx4 v[50:53], v[54:55], off
	v_lshl_add_u64 v[66:67], v[58:59], 0, s[18:19]
	global_load_dwordx4 v[54:57], v[58:59], off
	s_movk_i32 s6, 0x3000
	global_load_dwordx4 v[58:61], v[66:67], off
	global_load_dwordx4 v[112:115], v[40:41], off offset:832
	v_lshl_add_u64 v[66:67], v[66:67], 0, s[4:5]
	s_load_dwordx2 s[12:13], s[0:1], 0x38
	s_waitcnt vmcnt(28)
	v_mul_f64 v[62:63], v[22:23], v[188:189]
	v_mul_f64 v[64:65], v[20:21], v[188:189]
	v_fmac_f64_e32 v[62:63], v[20:21], v[186:187]
	s_waitcnt vmcnt(26)
	v_mul_f64 v[20:21], v[10:11], v[184:185]
	v_fma_f64 v[64:65], v[22:23], v[186:187], -v[64:65]
	v_mul_f64 v[22:23], v[8:9], v[184:185]
	v_fmac_f64_e32 v[20:21], v[8:9], v[182:183]
	v_add_co_u32_e32 v8, vcc, s6, v214
	ds_write_b128 v78, v[62:65]
	s_nop 0
	v_addc_co_u32_e32 v9, vcc, 0, v215, vcc
	global_load_dwordx4 v[120:123], v[8:9], off offset:32
	global_load_dwordx4 v[62:65], v[66:67], off
	v_fma_f64 v[22:23], v[10:11], v[182:183], -v[22:23]
	ds_write_b128 v78, v[20:23] offset:7392
	v_lshl_add_u64 v[10:11], v[66:67], 0, s[18:19]
	global_load_dwordx4 v[20:23], v[10:11], off
	global_load_dwordx4 v[132:135], v[40:41], off offset:1536
	s_waitcnt vmcnt(28)
	v_mul_f64 v[66:67], v[6:7], v[76:77]
	v_lshl_add_u64 v[10:11], v[10:11], 0, s[4:5]
	v_fmac_f64_e32 v[66:67], v[4:5], v[74:75]
	global_load_dwordx4 v[70:73], v[10:11], off
	global_load_dwordx4 v[202:205], v[8:9], off offset:736
	v_mul_f64 v[4:5], v[4:5], v[76:77]
	v_accvgpr_write_b32 a40, v74
	v_fma_f64 v[68:69], v[6:7], v[74:75], -v[4:5]
	v_lshl_add_u64 v[4:5], v[10:11], 0, s[18:19]
	v_accvgpr_write_b32 a41, v75
	v_accvgpr_write_b32 a42, v76
	;; [unrolled: 1-line block ×3, first 2 shown]
	global_load_dwordx4 v[74:77], v[4:5], off
	global_load_dwordx4 v[116:119], v[40:41], off offset:2240
	ds_write_b128 v78, v[66:69] offset:704
	v_lshl_add_u64 v[4:5], v[4:5], 0, s[4:5]
	global_load_dwordx4 v[66:69], v[4:5], off
	global_load_dwordx4 v[124:127], v[8:9], off offset:1440
	s_waitcnt vmcnt(32)
	v_mul_f64 v[6:7], v[0:1], v[98:99]
	v_mul_f64 v[80:81], v[2:3], v[98:99]
	v_fma_f64 v[82:83], v[2:3], v[96:97], -v[6:7]
	v_fmac_f64_e32 v[80:81], v[0:1], v[96:97]
	s_waitcnt vmcnt(30)
	v_mul_f64 v[0:1], v[14:15], v[94:95]
	v_mul_f64 v[2:3], v[12:13], v[94:95]
	v_fmac_f64_e32 v[0:1], v[12:13], v[92:93]
	v_fma_f64 v[2:3], v[14:15], v[92:93], -v[2:3]
	ds_write_b128 v78, v[0:3] offset:1408
	s_waitcnt vmcnt(28)
	v_mul_f64 v[0:1], v[18:19], v[196:197]
	v_mul_f64 v[2:3], v[16:17], v[196:197]
	v_fmac_f64_e32 v[0:1], v[16:17], v[194:195]
	v_fma_f64 v[2:3], v[18:19], v[194:195], -v[2:3]
	ds_write_b128 v78, v[0:3] offset:8800
	;; [unrolled: 6-line block ×11, first 2 shown]
	v_accvgpr_write_b32 a48, v96
	s_waitcnt vmcnt(8)
	v_mul_f64 v[0:1], v[64:65], v[122:123]
	v_mul_f64 v[2:3], v[62:63], v[122:123]
	v_fmac_f64_e32 v[0:1], v[62:63], v[120:121]
	v_fma_f64 v[2:3], v[64:65], v[120:121], -v[2:3]
	ds_write_b128 v78, v[0:3] offset:12320
	s_waitcnt vmcnt(6)
	v_mul_f64 v[0:1], v[22:23], v[134:135]
	v_mul_f64 v[2:3], v[20:21], v[134:135]
	v_fmac_f64_e32 v[0:1], v[20:21], v[132:133]
	v_fma_f64 v[2:3], v[22:23], v[132:133], -v[2:3]
	ds_write_b128 v78, v[0:3] offset:5632
	;; [unrolled: 6-line block ×3, first 2 shown]
	v_accvgpr_write_b32 a44, v92
	s_waitcnt vmcnt(2)
	v_mul_f64 v[0:1], v[76:77], v[118:119]
	v_mul_f64 v[2:3], v[74:75], v[118:119]
	v_fmac_f64_e32 v[0:1], v[74:75], v[116:117]
	v_fma_f64 v[2:3], v[76:77], v[116:117], -v[2:3]
	v_accvgpr_write_b32 a36, v88
	v_accvgpr_write_b32 a60, v108
	;; [unrolled: 1-line block ×10, first 2 shown]
	ds_write_b128 v78, v[0:3] offset:6336
	s_waitcnt vmcnt(0)
	v_mul_f64 v[0:1], v[68:69], v[126:127]
	v_mul_f64 v[2:3], v[66:67], v[126:127]
	v_accvgpr_write_b32 a76, v124
	v_accvgpr_write_b32 a49, v97
	;; [unrolled: 1-line block ×37, first 2 shown]
	v_fmac_f64_e32 v[0:1], v[66:67], v[124:125]
	v_accvgpr_write_b32 a77, v125
	v_accvgpr_write_b32 a78, v126
	;; [unrolled: 1-line block ×3, first 2 shown]
	v_fma_f64 v[2:3], v[68:69], v[124:125], -v[2:3]
	v_cmp_gt_u16_e64 s[4:5], 22, v180
	ds_write_b128 v78, v[80:83] offset:8096
	ds_write_b128 v78, v[0:3] offset:13728
	s_and_saveexec_b64 s[6:7], s[4:5]
	s_cbranch_execz .LBB0_3
; %bb.2:
	v_lshl_add_u64 v[10:11], s[16:17], 4, v[4:5]
	v_add_co_u32_e32 v4, vcc, 0x1000, v214
	global_load_dwordx4 v[0:3], v[10:11], off
	s_nop 0
	v_addc_co_u32_e32 v5, vcc, 0, v215, vcc
	global_load_dwordx4 v[4:7], v[4:5], off offset:2944
	v_lshl_add_u64 v[18:19], s[2:3], 4, v[10:11]
	global_load_dwordx4 v[10:13], v[8:9], off offset:2144
	global_load_dwordx4 v[14:17], v[18:19], off
	s_waitcnt vmcnt(2)
	v_mul_f64 v[18:19], v[2:3], v[6:7]
	v_mul_f64 v[8:9], v[0:1], v[6:7]
	s_waitcnt vmcnt(0)
	v_mul_f64 v[6:7], v[16:17], v[12:13]
	v_mul_f64 v[12:13], v[14:15], v[12:13]
	v_fmac_f64_e32 v[18:19], v[0:1], v[4:5]
	v_fma_f64 v[20:21], v[2:3], v[4:5], -v[8:9]
	v_fmac_f64_e32 v[6:7], v[14:15], v[10:11]
	v_fma_f64 v[8:9], v[16:17], v[10:11], -v[12:13]
	ds_write_b128 v78, v[18:21] offset:7040
	ds_write_b128 v78, v[6:9] offset:14432
.LBB0_3:
	s_or_b64 exec, exec, s[6:7]
	s_waitcnt lgkmcnt(0)
	; wave barrier
	s_waitcnt lgkmcnt(0)
	ds_read_b128 v[84:87], v78
	ds_read_b128 v[68:71], v78 offset:704
	ds_read_b128 v[88:91], v78 offset:7392
	;; [unrolled: 1-line block ×19, first 2 shown]
                                        ; implicit-def: $vgpr0_vgpr1
                                        ; implicit-def: $vgpr16_vgpr17
	s_and_saveexec_b64 s[2:3], s[4:5]
	s_cbranch_execz .LBB0_5
; %bb.4:
	ds_read_b128 v[0:3], v78 offset:7040
	ds_read_b128 v[16:19], v78 offset:14432
.LBB0_5:
	s_or_b64 exec, exec, s[2:3]
	s_mov_b64 s[2:3], 0x58
	v_lshl_add_u64 v[98:99], v[180:181], 0, s[2:3]
	s_mov_b64 s[2:3], 0x84
	v_lshl_add_u64 v[96:97], v[180:181], 0, 44
	v_lshl_add_u64 v[106:107], v[180:181], 0, s[2:3]
	s_mov_b64 s[2:3], 0xb0
	s_waitcnt lgkmcnt(14)
	v_add_f64 v[88:89], v[84:85], -v[88:89]
	v_add_f64 v[90:91], v[86:87], -v[90:91]
	v_add_f64 v[80:81], v[68:69], -v[80:81]
	v_add_f64 v[82:83], v[70:71], -v[82:83]
	s_waitcnt lgkmcnt(13)
	v_add_f64 v[72:73], v[64:65], -v[72:73]
	v_add_f64 v[74:75], v[66:67], -v[74:75]
	s_waitcnt lgkmcnt(12)
	v_add_f64 v[60:61], v[52:53], -v[60:61]
	v_add_f64 v[62:63], v[54:55], -v[62:63]
	s_waitcnt lgkmcnt(0)
	v_add_f64 v[8:9], v[4:5], -v[8:9]
	v_lshl_add_u64 v[104:105], v[180:181], 0, s[2:3]
	s_mov_b64 s[2:3], 0xdc
	v_fma_f64 v[84:85], v[84:85], 2.0, -v[88:89]
	v_fma_f64 v[86:87], v[86:87], 2.0, -v[90:91]
	;; [unrolled: 1-line block ×8, first 2 shown]
	v_add_f64 v[56:57], v[48:49], -v[56:57]
	v_add_f64 v[58:59], v[50:51], -v[58:59]
	v_fma_f64 v[92:93], v[4:5], 2.0, -v[8:9]
	v_add_f64 v[4:5], v[0:1], -v[16:17]
	v_lshlrev_b32_e32 v207, 5, v180
	v_lshlrev_b32_e32 v212, 5, v96
	;; [unrolled: 1-line block ×4, first 2 shown]
	v_lshl_add_u64 v[102:103], v[180:181], 0, s[2:3]
	s_mov_b64 s[2:3], 0x108
	v_fma_f64 v[48:49], v[48:49], 2.0, -v[56:57]
	v_fma_f64 v[50:51], v[50:51], 2.0, -v[58:59]
	v_add_f64 v[44:45], v[36:37], -v[44:45]
	v_add_f64 v[46:47], v[38:39], -v[46:47]
	s_waitcnt lgkmcnt(0)
	; wave barrier
	ds_write_b128 v207, v[84:87]
	ds_write_b128 v207, v[88:91] offset:16
	ds_write_b128 v212, v[68:71]
	ds_write_b128 v212, v[80:83] offset:16
	;; [unrolled: 2-line block ×3, first 2 shown]
	ds_write_b128 v16, v[52:55]
	v_accvgpr_write_b32 a86, v16
	ds_write_b128 v16, v[60:63] offset:16
	v_lshlrev_b32_e32 v16, 5, v104
	v_lshl_add_u64 v[100:101], v[180:181], 0, s[2:3]
	v_lshlrev_b32_e32 v76, 1, v180
	v_fma_f64 v[36:37], v[36:37], 2.0, -v[44:45]
	v_fma_f64 v[38:39], v[38:39], 2.0, -v[46:47]
	v_add_f64 v[40:41], v[32:33], -v[40:41]
	v_add_f64 v[42:43], v[34:35], -v[42:43]
	ds_write_b128 v16, v[48:51]
	v_accvgpr_write_b32 a88, v16
	ds_write_b128 v16, v[56:59] offset:16
	v_lshlrev_b32_e32 v16, 5, v102
	s_load_dwordx2 s[0:1], s[0:1], 0x8
	v_fma_f64 v[32:33], v[32:33], 2.0, -v[40:41]
	v_fma_f64 v[34:35], v[34:35], 2.0, -v[42:43]
	v_add_f64 v[24:25], v[12:13], -v[24:25]
	v_add_f64 v[26:27], v[14:15], -v[26:27]
	ds_write_b128 v16, v[36:39]
	v_accvgpr_write_b32 a89, v16
	ds_write_b128 v16, v[44:47] offset:16
	v_lshlrev_b32_e32 v16, 5, v100
	v_add_u32_e32 v79, 0x268, v76
	s_mov_b64 s[2:3], 0x1b8
	v_add_f64 v[28:29], v[20:21], -v[28:29]
	v_add_f64 v[30:31], v[22:23], -v[30:31]
	v_fma_f64 v[12:13], v[12:13], 2.0, -v[24:25]
	v_fma_f64 v[14:15], v[14:15], 2.0, -v[26:27]
	ds_write_b128 v16, v[32:35]
	v_accvgpr_write_b32 a90, v16
	ds_write_b128 v16, v[40:43] offset:16
	v_lshlrev_b32_e32 v17, 4, v79
	v_lshlrev_b32_e32 v16, 4, v76
	v_add_u32_e32 v99, 0x2c0, v76
	v_add_u32_e32 v101, 0x318, v76
	v_lshl_add_u64 v[108:109], v[180:181], 0, s[2:3]
	v_fma_f64 v[20:21], v[20:21], 2.0, -v[28:29]
	v_fma_f64 v[22:23], v[22:23], 2.0, -v[30:31]
	v_add_f64 v[10:11], v[6:7], -v[10:11]
	v_accvgpr_write_b32 a91, v17
	ds_write_b128 v17, v[28:31] offset:16
	v_lshlrev_b32_e32 v17, 4, v99
	ds_write_b128 v16, v[12:15] offset:11264
	v_lshlrev_b32_e32 v12, 4, v101
	v_fma_f64 v[94:95], v[6:7], 2.0, -v[10:11]
	v_add_f64 v[6:7], v[2:3], -v[18:19]
	ds_write_b128 v16, v[20:23] offset:9856
	ds_write_b128 v17, v[24:27] offset:16
	;; [unrolled: 1-line block ×3, first 2 shown]
	v_lshlrev_b32_e32 v8, 5, v108
	v_fma_f64 v[0:1], v[0:1], 2.0, -v[4:5]
	v_fma_f64 v[2:3], v[2:3], 2.0, -v[6:7]
	v_lshlrev_b32_e32 v109, 1, v96
	v_lshlrev_b32_e32 v103, 1, v98
	;; [unrolled: 1-line block ×6, first 2 shown]
	v_accvgpr_write_b32 a92, v17
	v_accvgpr_write_b32 a93, v12
	v_accvgpr_write_b32 a87, v8
	ds_write_b128 v16, v[92:95] offset:12672
	s_and_saveexec_b64 s[2:3], s[4:5]
	s_cbranch_execz .LBB0_7
; %bb.6:
	v_accvgpr_read_b32 v8, a87
	ds_write_b128 v8, v[0:3]
	ds_write_b128 v8, v[4:7] offset:16
.LBB0_7:
	s_or_b64 exec, exec, s[2:3]
	s_waitcnt lgkmcnt(0)
	; wave barrier
	s_waitcnt lgkmcnt(0)
	ds_read_b128 v[8:11], v78
	ds_read_b128 v[12:15], v78 offset:704
	ds_read_b128 v[52:55], v78 offset:7392
	ds_read_b128 v[48:51], v78 offset:8096
	ds_read_b128 v[20:23], v78 offset:1408
	ds_read_b128 v[24:27], v78 offset:2112
	ds_read_b128 v[60:63], v78 offset:8800
	ds_read_b128 v[56:59], v78 offset:9504
	ds_read_b128 v[28:31], v78 offset:2816
	ds_read_b128 v[32:35], v78 offset:3520
	ds_read_b128 v[68:71], v78 offset:10208
	ds_read_b128 v[64:67], v78 offset:10912
	ds_read_b128 v[36:39], v78 offset:4224
	ds_read_b128 v[40:43], v78 offset:4928
	ds_read_b128 v[84:87], v78 offset:11616
	ds_read_b128 v[72:75], v78 offset:12320
	ds_read_b128 v[44:47], v78 offset:5632
	ds_read_b128 v[16:19], v78 offset:6336
	ds_read_b128 v[92:95], v78 offset:13024
	ds_read_b128 v[88:91], v78 offset:13728
	s_and_saveexec_b64 s[2:3], s[4:5]
	s_cbranch_execz .LBB0_9
; %bb.8:
	ds_read_b128 v[0:3], v78 offset:7040
	ds_read_b128 v[4:7], v78 offset:14432
.LBB0_9:
	s_or_b64 exec, exec, s[2:3]
	v_and_b32_e32 v181, 1, v180
	v_lshlrev_b32_e32 v80, 4, v181
	global_load_dwordx4 v[80:83], v80, s[0:1]
	s_movk_i32 s2, 0x7c
	v_and_or_b32 v76, v76, s2, v181
	v_lshlrev_b32_e32 v76, 4, v76
	s_movk_i32 s2, 0xfc
	s_waitcnt lgkmcnt(0)
	; wave barrier
	s_waitcnt lgkmcnt(0)
	s_movk_i32 s6, 0x3fc
	v_accvgpr_write_b32 a106, v76
	s_waitcnt vmcnt(0)
	v_mul_f64 v[110:111], v[54:55], v[82:83]
	v_mul_f64 v[112:113], v[52:53], v[82:83]
	;; [unrolled: 1-line block ×10, first 2 shown]
	v_fma_f64 v[52:53], v[52:53], v[80:81], -v[110:111]
	v_fmac_f64_e32 v[112:113], v[54:55], v[80:81]
	v_mul_f64 v[120:121], v[60:61], v[82:83]
	v_mul_f64 v[128:129], v[68:69], v[82:83]
	v_mul_f64 v[136:137], v[84:85], v[82:83]
	v_mul_f64 v[144:145], v[92:93], v[82:83]
	v_fma_f64 v[48:49], v[48:49], v[80:81], -v[114:115]
	v_fmac_f64_e32 v[116:117], v[50:51], v[80:81]
	v_fma_f64 v[54:55], v[60:61], v[80:81], -v[118:119]
	v_fma_f64 v[60:61], v[68:69], v[80:81], -v[126:127]
	;; [unrolled: 1-line block ×5, first 2 shown]
	v_fmac_f64_e32 v[152:153], v[6:7], v[80:81]
	v_add_f64 v[4:5], v[8:9], -v[52:53]
	v_add_f64 v[6:7], v[10:11], -v[112:113]
	;; [unrolled: 1-line block ×4, first 2 shown]
	v_fma_f64 v[8:9], v[8:9], 2.0, -v[4:5]
	ds_write_b128 v76, v[4:7] offset:32
	v_and_or_b32 v4, v109, s2, v181
	v_fmac_f64_e32 v[120:121], v[62:63], v[80:81]
	v_fma_f64 v[10:11], v[10:11], 2.0, -v[6:7]
	v_fma_f64 v[12:13], v[12:13], 2.0, -v[48:49]
	;; [unrolled: 1-line block ×3, first 2 shown]
	v_lshlrev_b32_e32 v4, 4, v4
	s_movk_i32 s2, 0x1fc
	v_mul_f64 v[122:123], v[58:59], v[82:83]
	v_mul_f64 v[124:125], v[56:57], v[82:83]
	v_add_f64 v[52:53], v[20:21], -v[54:55]
	v_add_f64 v[54:55], v[22:23], -v[120:121]
	ds_write_b128 v76, v[8:11]
	ds_write_b128 v4, v[12:15]
	v_accvgpr_write_b32 a107, v4
	ds_write_b128 v4, v[48:51] offset:32
	v_and_or_b32 v4, v103, s2, v181
	v_fma_f64 v[56:57], v[56:57], v[80:81], -v[122:123]
	v_fmac_f64_e32 v[124:125], v[58:59], v[80:81]
	v_fma_f64 v[20:21], v[20:21], 2.0, -v[52:53]
	v_fma_f64 v[22:23], v[22:23], 2.0, -v[54:55]
	v_lshlrev_b32_e32 v4, 4, v4
	v_add_f64 v[56:57], v[24:25], -v[56:57]
	v_add_f64 v[58:59], v[26:27], -v[124:125]
	ds_write_b128 v4, v[20:23]
	v_accvgpr_write_b32 a108, v4
	ds_write_b128 v4, v[52:55] offset:32
	v_and_or_b32 v4, v105, s2, v181
	v_fmac_f64_e32 v[128:129], v[70:71], v[80:81]
	v_fma_f64 v[24:25], v[24:25], 2.0, -v[56:57]
	v_fma_f64 v[26:27], v[26:27], 2.0, -v[58:59]
	v_lshlrev_b32_e32 v4, 4, v4
	v_mul_f64 v[130:131], v[66:67], v[82:83]
	v_mul_f64 v[132:133], v[64:65], v[82:83]
	v_add_f64 v[60:61], v[28:29], -v[60:61]
	v_add_f64 v[62:63], v[30:31], -v[128:129]
	ds_write_b128 v4, v[24:27]
	v_accvgpr_write_b32 a109, v4
	ds_write_b128 v4, v[56:59] offset:32
	v_and_or_b32 v4, v107, s2, v181
	v_fma_f64 v[64:65], v[64:65], v[80:81], -v[130:131]
	v_fmac_f64_e32 v[132:133], v[66:67], v[80:81]
	v_fma_f64 v[28:29], v[28:29], 2.0, -v[60:61]
	v_fma_f64 v[30:31], v[30:31], 2.0, -v[62:63]
	v_lshlrev_b32_e32 v4, 4, v4
	v_add_f64 v[64:65], v[32:33], -v[64:65]
	v_add_f64 v[66:67], v[34:35], -v[132:133]
	ds_write_b128 v4, v[28:31]
	v_accvgpr_write_b32 a110, v4
	ds_write_b128 v4, v[60:63] offset:32
	v_and_or_b32 v4, v97, s6, v181
	v_fmac_f64_e32 v[136:137], v[86:87], v[80:81]
	v_fma_f64 v[32:33], v[32:33], 2.0, -v[64:65]
	v_fma_f64 v[34:35], v[34:35], 2.0, -v[66:67]
	v_lshlrev_b32_e32 v4, 4, v4
	s_movk_i32 s2, 0x2fc
	v_mul_f64 v[138:139], v[74:75], v[82:83]
	v_mul_f64 v[140:141], v[72:73], v[82:83]
	v_add_f64 v[68:69], v[36:37], -v[68:69]
	v_add_f64 v[70:71], v[38:39], -v[136:137]
	ds_write_b128 v4, v[32:35]
	v_accvgpr_write_b32 a111, v4
	ds_write_b128 v4, v[64:67] offset:32
	v_and_or_b32 v4, v77, s2, v181
	v_fma_f64 v[72:73], v[72:73], v[80:81], -v[138:139]
	v_fmac_f64_e32 v[140:141], v[74:75], v[80:81]
	v_fma_f64 v[36:37], v[36:37], 2.0, -v[68:69]
	v_fma_f64 v[38:39], v[38:39], 2.0, -v[70:71]
	v_lshlrev_b32_e32 v4, 4, v4
	v_add_f64 v[72:73], v[40:41], -v[72:73]
	v_add_f64 v[74:75], v[42:43], -v[140:141]
	ds_write_b128 v4, v[36:39]
	v_accvgpr_write_b32 a117, v4
	ds_write_b128 v4, v[68:71] offset:32
	v_and_or_b32 v4, v79, s2, v181
	v_fmac_f64_e32 v[144:145], v[94:95], v[80:81]
	v_fma_f64 v[40:41], v[40:41], 2.0, -v[72:73]
	v_fma_f64 v[42:43], v[42:43], 2.0, -v[74:75]
	v_lshlrev_b32_e32 v4, 4, v4
	v_mul_f64 v[146:147], v[90:91], v[82:83]
	v_mul_f64 v[148:149], v[88:89], v[82:83]
	v_add_f64 v[84:85], v[44:45], -v[84:85]
	v_add_f64 v[86:87], v[46:47], -v[144:145]
	ds_write_b128 v4, v[40:43]
	v_accvgpr_write_b32 a118, v4
	ds_write_b128 v4, v[72:75] offset:32
	v_and_or_b32 v4, v99, s6, v181
	v_fma_f64 v[88:89], v[88:89], v[80:81], -v[146:147]
	v_fmac_f64_e32 v[148:149], v[90:91], v[80:81]
	v_fma_f64 v[44:45], v[44:45], 2.0, -v[84:85]
	v_fma_f64 v[46:47], v[46:47], 2.0, -v[86:87]
	v_lshlrev_b32_e32 v4, 4, v4
	v_add_f64 v[88:89], v[16:17], -v[88:89]
	v_add_f64 v[90:91], v[18:19], -v[148:149]
	ds_write_b128 v4, v[44:47]
	v_accvgpr_write_b32 a119, v4
	ds_write_b128 v4, v[84:87] offset:32
	v_and_or_b32 v4, v101, s6, v181
	v_fma_f64 v[16:17], v[16:17], 2.0, -v[88:89]
	v_fma_f64 v[18:19], v[18:19], 2.0, -v[90:91]
	v_lshlrev_b32_e32 v4, 4, v4
	ds_write_b128 v4, v[16:19]
	v_accvgpr_write_b32 a120, v4
	ds_write_b128 v4, v[88:91] offset:32
	v_lshlrev_b32_e32 v4, 1, v108
	v_add_f64 v[244:245], v[0:1], -v[92:93]
	v_add_f64 v[246:247], v[2:3], -v[152:153]
	v_accvgpr_write_b32 a116, v4
	s_and_saveexec_b64 s[2:3], s[4:5]
	s_cbranch_execz .LBB0_11
; %bb.10:
	v_accvgpr_read_b32 v4, a116
	v_and_or_b32 v4, v4, s6, v181
	v_fma_f64 v[2:3], v[2:3], 2.0, -v[246:247]
	v_fma_f64 v[0:1], v[0:1], 2.0, -v[244:245]
	v_lshlrev_b32_e32 v4, 4, v4
	ds_write_b128 v4, v[0:3]
	ds_write_b128 v4, v[244:247] offset:32
.LBB0_11:
	s_or_b64 exec, exec, s[2:3]
	v_and_b32_e32 v79, 3, v180
	v_lshlrev_b32_e32 v0, 5, v79
	s_waitcnt lgkmcnt(0)
	; wave barrier
	s_waitcnt lgkmcnt(0)
	global_load_dwordx4 v[88:91], v0, s[0:1] offset:32
	global_load_dwordx4 v[84:87], v0, s[0:1] offset:48
	ds_read_b128 v[24:27], v78
	ds_read_b128 v[20:23], v78 offset:704
	ds_read_b128 v[28:31], v78 offset:9856
	;; [unrolled: 1-line block ×20, first 2 shown]
	s_mov_b32 s2, 0xe8584caa
	s_mov_b32 s3, 0x3febb67a
	;; [unrolled: 1-line block ×4, first 2 shown]
	s_waitcnt lgkmcnt(0)
	; wave barrier
	s_waitcnt lgkmcnt(0)
	s_mov_b32 s18, 0xe976ee23
	s_mov_b32 s19, 0xbfe11646
	;; [unrolled: 1-line block ×16, first 2 shown]
	s_waitcnt vmcnt(1)
	v_mul_f64 v[76:77], v[70:71], v[90:91]
	v_mul_f64 v[112:113], v[68:69], v[90:91]
	s_waitcnt vmcnt(0)
	v_mul_f64 v[114:115], v[30:31], v[86:87]
	v_mul_f64 v[116:117], v[28:29], v[86:87]
	v_fma_f64 v[68:69], v[68:69], v[88:89], -v[76:77]
	v_fmac_f64_e32 v[112:113], v[70:71], v[88:89]
	v_fma_f64 v[70:71], v[28:29], v[84:85], -v[114:115]
	v_mul_f64 v[118:119], v[38:39], v[90:91]
	v_mul_f64 v[122:123], v[34:35], v[86:87]
	;; [unrolled: 1-line block ×3, first 2 shown]
	v_fmac_f64_e32 v[116:117], v[30:31], v[84:85]
	v_add_f64 v[30:31], v[68:69], v[70:71]
	v_mul_f64 v[120:121], v[36:37], v[90:91]
	v_fma_f64 v[76:77], v[36:37], v[88:89], -v[118:119]
	v_fma_f64 v[114:115], v[32:33], v[84:85], -v[122:123]
	v_fmac_f64_e32 v[124:125], v[34:35], v[84:85]
	v_add_f64 v[28:29], v[24:25], v[68:69]
	v_fmac_f64_e32 v[24:25], -0.5, v[30:31]
	v_add_f64 v[30:31], v[112:113], -v[116:117]
	v_add_f64 v[34:35], v[112:113], v[116:117]
	v_mul_f64 v[126:127], v[42:43], v[90:91]
	v_mul_f64 v[128:129], v[40:41], v[90:91]
	v_mul_f64 v[130:131], v[46:47], v[86:87]
	v_fmac_f64_e32 v[120:121], v[38:39], v[88:89]
	v_fma_f64 v[32:33], s[2:3], v[30:31], v[24:25]
	v_fmac_f64_e32 v[24:25], s[6:7], v[30:31]
	v_add_f64 v[30:31], v[26:27], v[112:113]
	v_fmac_f64_e32 v[26:27], -0.5, v[34:35]
	v_add_f64 v[36:37], v[68:69], -v[70:71]
	v_add_f64 v[38:39], v[76:77], v[114:115]
	v_mul_f64 v[132:133], v[44:45], v[86:87]
	v_fma_f64 v[118:119], v[40:41], v[88:89], -v[126:127]
	v_fmac_f64_e32 v[128:129], v[42:43], v[88:89]
	v_fma_f64 v[122:123], v[44:45], v[84:85], -v[130:131]
	v_fma_f64 v[34:35], s[6:7], v[36:37], v[26:27]
	v_fmac_f64_e32 v[26:27], s[2:3], v[36:37]
	v_add_f64 v[36:37], v[20:21], v[76:77]
	v_fmac_f64_e32 v[20:21], -0.5, v[38:39]
	v_add_f64 v[38:39], v[120:121], -v[124:125]
	v_add_f64 v[42:43], v[120:121], v[124:125]
	v_mul_f64 v[134:135], v[54:55], v[90:91]
	v_mul_f64 v[138:139], v[50:51], v[86:87]
	;; [unrolled: 1-line block ×3, first 2 shown]
	v_fmac_f64_e32 v[132:133], v[46:47], v[84:85]
	v_fma_f64 v[40:41], s[2:3], v[38:39], v[20:21]
	v_fmac_f64_e32 v[20:21], s[6:7], v[38:39]
	v_add_f64 v[38:39], v[22:23], v[120:121]
	v_fmac_f64_e32 v[22:23], -0.5, v[42:43]
	v_add_f64 v[44:45], v[76:77], -v[114:115]
	v_add_f64 v[46:47], v[118:119], v[122:123]
	v_mul_f64 v[136:137], v[52:53], v[90:91]
	v_fma_f64 v[126:127], v[52:53], v[88:89], -v[134:135]
	v_fma_f64 v[130:131], v[48:49], v[84:85], -v[138:139]
	v_fmac_f64_e32 v[140:141], v[50:51], v[84:85]
	v_fma_f64 v[42:43], s[6:7], v[44:45], v[22:23]
	v_fmac_f64_e32 v[22:23], s[2:3], v[44:45]
	v_add_f64 v[44:45], v[16:17], v[118:119]
	v_fmac_f64_e32 v[16:17], -0.5, v[46:47]
	v_add_f64 v[46:47], v[128:129], -v[132:133]
	v_add_f64 v[50:51], v[128:129], v[132:133]
	v_mul_f64 v[142:143], v[58:59], v[90:91]
	v_mul_f64 v[144:145], v[56:57], v[90:91]
	;; [unrolled: 1-line block ×3, first 2 shown]
	v_fmac_f64_e32 v[136:137], v[54:55], v[88:89]
	v_fma_f64 v[48:49], s[2:3], v[46:47], v[16:17]
	v_fmac_f64_e32 v[16:17], s[6:7], v[46:47]
	v_add_f64 v[46:47], v[18:19], v[128:129]
	v_fmac_f64_e32 v[18:19], -0.5, v[50:51]
	v_add_f64 v[52:53], v[118:119], -v[122:123]
	v_add_f64 v[54:55], v[126:127], v[130:131]
	v_mul_f64 v[148:149], v[60:61], v[86:87]
	v_fma_f64 v[134:135], v[56:57], v[88:89], -v[142:143]
	v_fmac_f64_e32 v[144:145], v[58:59], v[88:89]
	v_fma_f64 v[138:139], v[60:61], v[84:85], -v[146:147]
	v_fma_f64 v[50:51], s[6:7], v[52:53], v[18:19]
	v_fmac_f64_e32 v[18:19], s[2:3], v[52:53]
	v_add_f64 v[52:53], v[12:13], v[126:127]
	v_fmac_f64_e32 v[12:13], -0.5, v[54:55]
	v_add_f64 v[54:55], v[136:137], -v[140:141]
	v_add_f64 v[58:59], v[136:137], v[140:141]
	v_mul_f64 v[150:151], v[74:75], v[90:91]
	v_mul_f64 v[152:153], v[72:73], v[90:91]
	;; [unrolled: 1-line block ×4, first 2 shown]
	v_fmac_f64_e32 v[148:149], v[62:63], v[84:85]
	v_fma_f64 v[56:57], s[2:3], v[54:55], v[12:13]
	v_fmac_f64_e32 v[12:13], s[6:7], v[54:55]
	v_add_f64 v[54:55], v[14:15], v[136:137]
	v_fmac_f64_e32 v[14:15], -0.5, v[58:59]
	v_add_f64 v[60:61], v[126:127], -v[130:131]
	v_add_f64 v[62:63], v[134:135], v[138:139]
	v_fma_f64 v[142:143], v[72:73], v[88:89], -v[150:151]
	v_fmac_f64_e32 v[152:153], v[74:75], v[88:89]
	v_fma_f64 v[74:75], v[64:65], v[84:85], -v[154:155]
	v_fmac_f64_e32 v[156:157], v[66:67], v[84:85]
	v_fma_f64 v[58:59], s[6:7], v[60:61], v[14:15]
	v_fmac_f64_e32 v[14:15], s[2:3], v[60:61]
	v_add_f64 v[60:61], v[8:9], v[134:135]
	v_fmac_f64_e32 v[8:9], -0.5, v[62:63]
	v_add_f64 v[62:63], v[144:145], -v[148:149]
	v_add_f64 v[66:67], v[144:145], v[148:149]
	v_add_f64 v[28:29], v[28:29], v[70:71]
	v_fma_f64 v[64:65], s[2:3], v[62:63], v[8:9]
	v_fmac_f64_e32 v[8:9], s[6:7], v[62:63]
	v_add_f64 v[62:63], v[10:11], v[144:145]
	v_fmac_f64_e32 v[10:11], -0.5, v[66:67]
	v_add_f64 v[68:69], v[134:135], -v[138:139]
	v_add_f64 v[70:71], v[142:143], v[74:75]
	v_mul_f64 v[158:159], v[94:95], v[90:91]
	v_fma_f64 v[66:67], s[6:7], v[68:69], v[10:11]
	v_fmac_f64_e32 v[10:11], s[2:3], v[68:69]
	v_add_f64 v[68:69], v[4:5], v[142:143]
	v_fmac_f64_e32 v[4:5], -0.5, v[70:71]
	v_add_f64 v[70:71], v[152:153], -v[156:157]
	v_add_f64 v[76:77], v[152:153], v[156:157]
	v_mul_f64 v[162:163], v[110:111], v[86:87]
	v_fma_f64 v[146:147], v[92:93], v[88:89], -v[158:159]
	v_fma_f64 v[72:73], s[2:3], v[70:71], v[4:5]
	v_fmac_f64_e32 v[4:5], s[6:7], v[70:71]
	v_add_f64 v[70:71], v[6:7], v[152:153]
	v_fmac_f64_e32 v[6:7], -0.5, v[76:77]
	v_add_f64 v[76:77], v[142:143], -v[74:75]
	v_mul_f64 v[160:161], v[92:93], v[90:91]
	v_mul_f64 v[164:165], v[108:109], v[86:87]
	v_fma_f64 v[150:151], v[108:109], v[84:85], -v[162:163]
	v_add_f64 v[68:69], v[68:69], v[74:75]
	v_fma_f64 v[74:75], s[6:7], v[76:77], v[6:7]
	v_fmac_f64_e32 v[6:7], s[2:3], v[76:77]
	v_add_f64 v[76:77], v[0:1], v[146:147]
	v_fmac_f64_e32 v[160:161], v[94:95], v[88:89]
	v_fmac_f64_e32 v[164:165], v[110:111], v[84:85]
	v_add_f64 v[92:93], v[76:77], v[150:151]
	v_add_f64 v[76:77], v[146:147], v[150:151]
	v_fmac_f64_e32 v[0:1], -0.5, v[76:77]
	v_add_f64 v[76:77], v[160:161], -v[164:165]
	v_fma_f64 v[108:109], s[2:3], v[76:77], v[0:1]
	v_fmac_f64_e32 v[0:1], s[6:7], v[76:77]
	v_add_f64 v[76:77], v[2:3], v[160:161]
	v_add_f64 v[94:95], v[76:77], v[164:165]
	;; [unrolled: 1-line block ×3, first 2 shown]
	v_fmac_f64_e32 v[2:3], -0.5, v[76:77]
	v_add_f64 v[76:77], v[146:147], -v[150:151]
	v_fma_f64 v[110:111], s[6:7], v[76:77], v[2:3]
	v_fmac_f64_e32 v[2:3], s[2:3], v[76:77]
	v_lshrrev_b32_e32 v76, 2, v180
	v_mul_u32_u24_e32 v76, 12, v76
	v_or_b32_e32 v76, v76, v79
	v_add_f64 v[30:31], v[30:31], v[116:117]
	v_lshlrev_b32_e32 v76, 4, v76
	ds_write_b128 v76, v[28:31]
	ds_write_b128 v76, v[32:35] offset:64
	ds_write_b128 v76, v[24:27] offset:128
	v_lshrrev_b32_e32 v24, 2, v96
	v_mul_u32_u24_e32 v24, 12, v24
	v_or_b32_e32 v24, v24, v79
	v_add_f64 v[36:37], v[36:37], v[114:115]
	v_add_f64 v[38:39], v[38:39], v[124:125]
	v_lshlrev_b32_e32 v24, 4, v24
	ds_write_b128 v24, v[36:39]
	ds_write_b128 v24, v[40:43] offset:64
	ds_write_b128 v24, v[20:23] offset:128
	v_lshrrev_b32_e32 v20, 2, v98
	v_mul_u32_u24_e32 v20, 12, v20
	v_or_b32_e32 v20, v20, v79
	v_add_f64 v[44:45], v[44:45], v[122:123]
	;; [unrolled: 9-line block ×5, first 2 shown]
	v_lshlrev_b32_e32 v8, 4, v8
	ds_write_b128 v8, v[68:71]
	ds_write_b128 v8, v[72:75] offset:64
	ds_write_b128 v8, v[4:7] offset:128
	v_lshrrev_b32_e32 v4, 2, v100
	v_mul_u32_u24_e32 v4, 12, v4
	v_or_b32_e32 v4, v4, v79
	v_lshlrev_b32_e32 v4, 4, v4
	s_movk_i32 s6, 0xab
	ds_write_b128 v4, v[92:95]
	ds_write_b128 v4, v[108:111] offset:64
	ds_write_b128 v4, v[0:3] offset:128
	v_mul_lo_u16_sdwa v0, v180, s6 dst_sel:DWORD dst_unused:UNUSED_PAD src0_sel:BYTE_0 src1_sel:DWORD
	v_lshrrev_b16_e32 v64, 11, v0
	v_mul_lo_u16_e32 v0, 12, v64
	v_sub_u16_e32 v0, v180, v0
	v_and_b32_e32 v65, 0xff, v0
	s_movk_i32 s7, 0x60
	v_mov_b64_e32 v[0:1], s[0:1]
	v_mad_u64_u32 v[2:3], s[2:3], v65, s7, v[0:1]
	s_waitcnt lgkmcnt(0)
	; wave barrier
	s_waitcnt lgkmcnt(0)
	global_load_dwordx4 v[122:125], v[2:3], off offset:160
	global_load_dwordx4 v[110:113], v[2:3], off offset:176
	;; [unrolled: 1-line block ×6, first 2 shown]
	v_mul_lo_u16_sdwa v2, v96, s6 dst_sel:DWORD dst_unused:UNUSED_PAD src0_sel:BYTE_0 src1_sel:DWORD
	v_lshrrev_b16_e32 v66, 11, v2
	v_mul_lo_u16_e32 v2, 12, v66
	v_sub_u16_e32 v2, v96, v2
	v_and_b32_e32 v67, 0xff, v2
	v_mad_u64_u32 v[2:3], s[2:3], v67, s7, v[0:1]
	global_load_dwordx4 v[146:149], v[2:3], off offset:160
	global_load_dwordx4 v[142:145], v[2:3], off offset:176
	;; [unrolled: 1-line block ×6, first 2 shown]
	v_mul_lo_u16_sdwa v2, v98, s6 dst_sel:DWORD dst_unused:UNUSED_PAD src0_sel:BYTE_0 src1_sel:DWORD
	v_lshrrev_b16_e32 v68, 11, v2
	v_mul_lo_u16_e32 v2, 12, v68
	v_sub_u16_e32 v2, v98, v2
	v_and_b32_e32 v69, 0xff, v2
	v_accvgpr_write_b32 a151, v4
	v_mad_u64_u32 v[4:5], s[2:3], v69, s7, v[0:1]
	global_load_dwordx4 v[170:173], v[4:5], off offset:160
	global_load_dwordx4 v[166:169], v[4:5], off offset:176
	;; [unrolled: 1-line block ×4, first 2 shown]
	v_accvgpr_write_b32 a143, v20
	v_accvgpr_write_b32 a148, v16
	;; [unrolled: 1-line block ×4, first 2 shown]
	ds_read_b128 v[32:35], v78
	ds_read_b128 v[0:3], v78 offset:704
	ds_read_b128 v[8:11], v78 offset:4224
	ds_read_b128 v[12:15], v78 offset:4928
	ds_read_b128 v[16:19], v78 offset:8448
	ds_read_b128 v[20:23], v78 offset:9152
	global_load_dwordx4 v[174:177], v[4:5], off offset:240
	global_load_dwordx4 v[216:219], v[4:5], off offset:224
	v_accvgpr_write_b32 a121, v76
	v_accvgpr_write_b32 a142, v24
	ds_read_b128 v[24:27], v78 offset:12672
	ds_read_b128 v[28:31], v78 offset:13376
	;; [unrolled: 1-line block ×15, first 2 shown]
	s_mov_b32 s6, 0x37e14327
	s_mov_b32 s7, 0x3fe948f6
	;; [unrolled: 1-line block ×4, first 2 shown]
	s_waitcnt lgkmcnt(0)
	; wave barrier
	s_waitcnt vmcnt(17) lgkmcnt(0)
	v_mul_f64 v[106:107], v[38:39], v[124:125]
	v_fma_f64 v[106:107], v[36:37], v[122:123], -v[106:107]
	v_mul_f64 v[36:37], v[36:37], v[124:125]
	v_fmac_f64_e32 v[36:37], v[38:39], v[122:123]
	s_waitcnt vmcnt(16)
	v_mul_f64 v[38:39], v[10:11], v[112:113]
	v_fma_f64 v[38:39], v[8:9], v[110:111], -v[38:39]
	v_mul_f64 v[108:109], v[8:9], v[112:113]
	v_accvgpr_write_b32 a163, v113
	s_waitcnt vmcnt(15)
	v_mul_f64 v[8:9], v[50:51], v[120:121]
	v_accvgpr_write_b32 a162, v112
	v_accvgpr_write_b32 a161, v111
	;; [unrolled: 1-line block ×3, first 2 shown]
	v_fmac_f64_e32 v[108:109], v[10:11], v[110:111]
	v_fma_f64 v[110:111], v[48:49], v[118:119], -v[8:9]
	v_mul_f64 v[48:49], v[48:49], v[120:121]
	s_waitcnt vmcnt(14)
	v_mul_f64 v[8:9], v[18:19], v[116:117]
	v_fmac_f64_e32 v[48:49], v[50:51], v[118:119]
	v_fma_f64 v[50:51], v[16:17], v[114:115], -v[8:9]
	v_mul_f64 v[112:113], v[16:17], v[116:117]
	v_accvgpr_write_b32 a155, v117
	s_waitcnt vmcnt(12)
	v_mul_f64 v[8:9], v[72:73], v[132:133]
	v_accvgpr_write_b32 a154, v116
	v_accvgpr_write_b32 a153, v115
	;; [unrolled: 1-line block ×3, first 2 shown]
	v_fmac_f64_e32 v[112:113], v[18:19], v[114:115]
	v_fma_f64 v[114:115], v[70:71], v[130:131], -v[8:9]
	v_mul_f64 v[70:71], v[70:71], v[132:133]
	v_mul_f64 v[8:9], v[26:27], v[128:129]
	v_accvgpr_write_b32 a159, v121
	v_fmac_f64_e32 v[70:71], v[72:73], v[130:131]
	v_fma_f64 v[72:73], v[24:25], v[126:127], -v[8:9]
	s_waitcnt vmcnt(11)
	v_mul_f64 v[8:9], v[42:43], v[148:149]
	v_accvgpr_write_b32 a167, v125
	v_accvgpr_write_b32 a158, v120
	;; [unrolled: 1-line block ×4, first 2 shown]
	v_fma_f64 v[118:119], v[40:41], v[146:147], -v[8:9]
	s_waitcnt vmcnt(10)
	v_mul_f64 v[8:9], v[14:15], v[144:145]
	v_accvgpr_write_b32 a166, v124
	v_accvgpr_write_b32 a165, v123
	;; [unrolled: 1-line block ×3, first 2 shown]
	v_mul_f64 v[116:117], v[24:25], v[128:129]
	v_accvgpr_write_b32 a171, v129
	v_fma_f64 v[122:123], v[12:13], v[142:143], -v[8:9]
	s_waitcnt vmcnt(9)
	v_mul_f64 v[8:9], v[58:59], v[140:141]
	v_accvgpr_write_b32 a175, v133
	v_accvgpr_write_b32 a170, v128
	;; [unrolled: 1-line block ×4, first 2 shown]
	v_fmac_f64_e32 v[116:117], v[26:27], v[126:127]
	v_fma_f64 v[126:127], v[56:57], v[138:139], -v[8:9]
	s_waitcnt vmcnt(8)
	v_mul_f64 v[8:9], v[22:23], v[136:137]
	v_accvgpr_write_b32 a174, v132
	v_accvgpr_write_b32 a173, v131
	;; [unrolled: 1-line block ×3, first 2 shown]
	v_fma_f64 v[130:131], v[20:21], v[134:135], -v[8:9]
	v_mul_f64 v[132:133], v[20:21], v[136:137]
	v_accvgpr_write_b32 a179, v137
	s_waitcnt vmcnt(6)
	v_mul_f64 v[8:9], v[94:95], v[156:157]
	v_mul_f64 v[124:125], v[12:13], v[144:145]
	v_accvgpr_write_b32 a178, v136
	v_accvgpr_write_b32 a177, v135
	;; [unrolled: 1-line block ×3, first 2 shown]
	v_fmac_f64_e32 v[132:133], v[22:23], v[134:135]
	v_fma_f64 v[134:135], v[92:93], v[154:155], -v[8:9]
	v_mul_f64 v[92:93], v[92:93], v[156:157]
	v_mul_f64 v[8:9], v[30:31], v[152:153]
	s_waitcnt vmcnt(5)
	v_mul_f64 v[10:11], v[44:45], v[172:173]
	v_mul_f64 v[120:121], v[40:41], v[148:149]
	v_fmac_f64_e32 v[124:125], v[14:15], v[142:143]
	v_mul_f64 v[128:129], v[56:57], v[140:141]
	v_fmac_f64_e32 v[92:93], v[94:95], v[154:155]
	v_fma_f64 v[94:95], v[28:29], v[150:151], -v[8:9]
	v_mul_f64 v[8:9], v[46:47], v[172:173]
	v_fmac_f64_e32 v[10:11], v[46:47], v[170:171]
	s_waitcnt vmcnt(4)
	v_mul_f64 v[12:13], v[54:55], v[168:169]
	v_mul_f64 v[14:15], v[52:53], v[168:169]
	s_waitcnt vmcnt(2)
	v_mul_f64 v[16:17], v[62:63], v[164:165]
	v_add_f64 v[40:41], v[106:107], v[72:73]
	v_add_f64 v[46:47], v[38:39], v[114:115]
	v_fmac_f64_e32 v[120:121], v[42:43], v[146:147]
	v_fmac_f64_e32 v[128:129], v[58:59], v[138:139]
	v_fma_f64 v[12:13], v[52:53], v[166:167], -v[12:13]
	v_fmac_f64_e32 v[14:15], v[54:55], v[166:167]
	v_fma_f64 v[16:17], v[60:61], v[162:163], -v[16:17]
	v_mul_f64 v[18:19], v[60:61], v[164:165]
	v_mul_f64 v[22:23], v[74:75], v[160:161]
	v_add_f64 v[42:43], v[36:37], v[116:117]
	v_add_f64 v[52:53], v[108:109], v[70:71]
	v_add_f64 v[54:55], v[108:109], -v[70:71]
	v_add_f64 v[56:57], v[110:111], v[50:51]
	v_add_f64 v[58:59], v[48:49], v[112:113]
	v_add_f64 v[48:49], v[112:113], -v[48:49]
	v_add_f64 v[60:61], v[46:47], v[40:41]
	v_fmac_f64_e32 v[18:19], v[62:63], v[162:163]
	v_mul_f64 v[20:21], v[76:77], v[160:161]
	v_fmac_f64_e32 v[22:23], v[76:77], v[158:159]
	s_waitcnt vmcnt(0)
	v_mul_f64 v[26:27], v[98:99], v[218:219]
	v_add_f64 v[36:37], v[36:37], -v[116:117]
	v_add_f64 v[38:39], v[38:39], -v[114:115]
	;; [unrolled: 1-line block ×3, first 2 shown]
	v_add_f64 v[62:63], v[52:53], v[42:43]
	v_add_f64 v[70:71], v[46:47], -v[40:41]
	v_add_f64 v[40:41], v[40:41], -v[56:57]
	;; [unrolled: 1-line block ×3, first 2 shown]
	v_add_f64 v[76:77], v[48:49], v[54:55]
	v_add_f64 v[56:57], v[56:57], v[60:61]
	v_mul_f64 v[136:137], v[28:29], v[152:153]
	v_fma_f64 v[8:9], v[44:45], v[170:171], -v[8:9]
	v_fma_f64 v[20:21], v[74:75], v[158:159], -v[20:21]
	v_mul_f64 v[24:25], v[100:101], v[218:219]
	v_fmac_f64_e32 v[26:27], v[100:101], v[216:217]
	v_mul_f64 v[28:29], v[104:105], v[176:177]
	v_add_f64 v[44:45], v[106:107], -v[72:73]
	v_add_f64 v[72:73], v[52:53], -v[42:43]
	;; [unrolled: 1-line block ×4, first 2 shown]
	v_add_f64 v[74:75], v[50:51], v[38:39]
	v_add_f64 v[100:101], v[48:49], -v[54:55]
	v_add_f64 v[48:49], v[36:37], -v[48:49]
	;; [unrolled: 1-line block ×3, first 2 shown]
	v_add_f64 v[58:59], v[58:59], v[62:63]
	v_add_f64 v[60:61], v[76:77], v[36:37]
	;; [unrolled: 1-line block ×3, first 2 shown]
	v_fmac_f64_e32 v[136:137], v[30:31], v[150:151]
	v_fma_f64 v[24:25], v[98:99], v[216:217], -v[24:25]
	v_fma_f64 v[28:29], v[102:103], v[174:175], -v[28:29]
	v_mul_f64 v[30:31], v[102:103], v[176:177]
	v_add_f64 v[98:99], v[50:51], -v[38:39]
	v_add_f64 v[50:51], v[44:45], -v[50:51]
	;; [unrolled: 1-line block ×3, first 2 shown]
	v_add_f64 v[44:45], v[74:75], v[44:45]
	v_add_f64 v[38:39], v[34:35], v[58:59]
	v_mul_f64 v[74:75], v[100:101], s[18:19]
	v_mov_b64_e32 v[100:101], v[36:37]
	v_mul_f64 v[32:33], v[40:41], s[6:7]
	v_mul_f64 v[34:35], v[42:43], s[6:7]
	v_fmac_f64_e32 v[100:101], s[20:21], v[56:57]
	v_mov_b64_e32 v[56:57], v[38:39]
	v_mul_f64 v[40:41], v[46:47], s[2:3]
	v_mul_f64 v[42:43], v[52:53], s[2:3]
	v_mul_f64 v[62:63], v[98:99], s[18:19]
	v_mul_f64 v[76:77], v[102:103], s[16:17]
	v_mul_f64 v[98:99], v[54:55], s[16:17]
	v_fmac_f64_e32 v[56:57], s[20:21], v[58:59]
	v_fma_f64 v[58:59], v[70:71], s[24:25], -v[32:33]
	v_fmac_f64_e32 v[32:33], s[2:3], v[46:47]
	v_fma_f64 v[46:47], v[72:73], s[24:25], -v[34:35]
	;; [unrolled: 2-line block ×4, first 2 shown]
	v_fma_f64 v[42:43], v[72:73], s[22:23], -v[42:43]
	v_fma_f64 v[70:71], v[102:103], s[16:17], -v[62:63]
	v_fmac_f64_e32 v[62:63], s[26:27], v[50:51]
	v_fma_f64 v[72:73], v[50:51], s[30:31], -v[76:77]
	v_fma_f64 v[76:77], v[48:49], s[30:31], -v[98:99]
	v_add_f64 v[32:33], v[32:33], v[100:101]
	v_fmac_f64_e32 v[74:75], s[28:29], v[60:61]
	v_add_f64 v[34:35], v[34:35], v[56:57]
	v_add_f64 v[54:55], v[40:41], v[100:101]
	;; [unrolled: 1-line block ×4, first 2 shown]
	v_fmac_f64_e32 v[62:63], s[28:29], v[44:45]
	v_fmac_f64_e32 v[70:71], s[28:29], v[44:45]
	;; [unrolled: 1-line block ×4, first 2 shown]
	v_add_f64 v[40:41], v[74:75], v[32:33]
	v_add_f64 v[60:61], v[32:33], -v[74:75]
	v_add_f64 v[32:33], v[118:119], v[94:95]
	v_add_f64 v[74:75], v[122:123], v[134:135]
	;; [unrolled: 1-line block ×3, first 2 shown]
	v_fmac_f64_e32 v[72:73], s[28:29], v[44:45]
	v_add_f64 v[42:43], v[34:35], -v[62:63]
	v_add_f64 v[44:45], v[76:77], v[58:59]
	v_add_f64 v[48:49], v[54:55], -v[52:53]
	v_add_f64 v[50:51], v[70:71], v[98:99]
	v_add_f64 v[52:53], v[52:53], v[54:55]
	v_add_f64 v[54:55], v[98:99], -v[70:71]
	v_add_f64 v[56:57], v[58:59], -v[76:77]
	v_add_f64 v[62:63], v[62:63], v[34:35]
	v_add_f64 v[34:35], v[120:121], v[136:137]
	v_add_f64 v[70:71], v[118:119], -v[94:95]
	v_add_f64 v[76:77], v[124:125], v[92:93]
	v_add_f64 v[94:95], v[122:123], -v[134:135]
	;; [unrolled: 2-line block ×3, first 2 shown]
	v_add_f64 v[106:107], v[74:75], v[32:33]
	v_fmac_f64_e32 v[30:31], v[104:105], v[174:175]
	v_add_f64 v[46:47], v[100:101], -v[72:73]
	v_add_f64 v[58:59], v[72:73], v[100:101]
	v_add_f64 v[92:93], v[124:125], -v[92:93]
	v_add_f64 v[100:101], v[128:129], v[132:133]
	;; [unrolled: 2-line block ×3, first 2 shown]
	v_add_f64 v[110:111], v[74:75], -v[32:33]
	v_add_f64 v[32:33], v[32:33], -v[98:99]
	;; [unrolled: 1-line block ×3, first 2 shown]
	v_add_f64 v[114:115], v[102:103], v[94:95]
	v_add_f64 v[98:99], v[98:99], v[106:107]
	v_add_f64 v[72:73], v[120:121], -v[136:137]
	v_add_f64 v[112:113], v[76:77], -v[34:35]
	;; [unrolled: 1-line block ×4, first 2 shown]
	v_add_f64 v[116:117], v[104:105], v[92:93]
	v_add_f64 v[118:119], v[102:103], -v[94:95]
	v_add_f64 v[102:103], v[70:71], -v[102:103]
	;; [unrolled: 1-line block ×3, first 2 shown]
	v_add_f64 v[100:101], v[100:101], v[108:109]
	v_add_f64 v[106:107], v[114:115], v[70:71]
	;; [unrolled: 1-line block ×3, first 2 shown]
	v_add_f64 v[120:121], v[104:105], -v[92:93]
	v_add_f64 v[104:105], v[72:73], -v[104:105]
	;; [unrolled: 1-line block ×3, first 2 shown]
	v_add_f64 v[108:109], v[116:117], v[72:73]
	v_add_f64 v[72:73], v[2:3], v[100:101]
	v_mov_b64_e32 v[122:123], v[70:71]
	v_mul_f64 v[0:1], v[32:33], s[6:7]
	v_mul_f64 v[2:3], v[34:35], s[6:7]
	;; [unrolled: 1-line block ×6, first 2 shown]
	v_fmac_f64_e32 v[122:123], s[20:21], v[98:99]
	v_mov_b64_e32 v[98:99], v[72:73]
	v_fmac_f64_e32 v[98:99], s[20:21], v[100:101]
	v_fma_f64 v[32:33], v[110:111], s[22:23], -v[32:33]
	v_fma_f64 v[34:35], v[112:113], s[22:23], -v[34:35]
	;; [unrolled: 1-line block ×3, first 2 shown]
	v_fmac_f64_e32 v[0:1], s[2:3], v[74:75]
	v_fma_f64 v[74:75], v[112:113], s[24:25], -v[2:3]
	v_fma_f64 v[110:111], v[94:95], s[16:17], -v[114:115]
	;; [unrolled: 1-line block ×3, first 2 shown]
	v_mul_f64 v[118:119], v[94:95], s[16:17]
	v_mul_f64 v[120:121], v[92:93], s[16:17]
	v_fmac_f64_e32 v[2:3], s[2:3], v[76:77]
	v_add_f64 v[32:33], v[32:33], v[122:123]
	v_add_f64 v[34:35], v[34:35], v[98:99]
	v_fmac_f64_e32 v[110:111], s[28:29], v[106:107]
	v_fmac_f64_e32 v[112:113], s[28:29], v[108:109]
	;; [unrolled: 1-line block ×4, first 2 shown]
	v_fma_f64 v[102:103], v[102:103], s[30:31], -v[118:119]
	v_fma_f64 v[104:105], v[104:105], s[30:31], -v[120:121]
	v_add_f64 v[2:3], v[2:3], v[98:99]
	v_add_f64 v[118:119], v[100:101], v[122:123]
	;; [unrolled: 1-line block ×3, first 2 shown]
	v_add_f64 v[98:99], v[32:33], -v[112:113]
	v_add_f64 v[100:101], v[110:111], v[34:35]
	v_add_f64 v[252:253], v[112:113], v[32:33]
	v_add_f64 v[254:255], v[34:35], -v[110:111]
	v_add_f64 v[32:33], v[8:9], v[28:29]
	v_add_f64 v[34:35], v[10:11], v[30:31]
	v_add_f64 v[8:9], v[8:9], -v[28:29]
	v_add_f64 v[10:11], v[10:11], -v[30:31]
	v_add_f64 v[28:29], v[12:13], v[24:25]
	v_add_f64 v[30:31], v[14:15], v[26:27]
	v_fmac_f64_e32 v[102:103], s[28:29], v[106:107]
	v_fmac_f64_e32 v[104:105], s[28:29], v[108:109]
	v_add_f64 v[12:13], v[12:13], -v[24:25]
	v_add_f64 v[14:15], v[14:15], -v[26:27]
	v_add_f64 v[24:25], v[16:17], v[20:21]
	v_add_f64 v[26:27], v[18:19], v[22:23]
	v_add_f64 v[16:17], v[20:21], -v[16:17]
	v_add_f64 v[18:19], v[22:23], -v[18:19]
	v_add_f64 v[20:21], v[28:29], v[32:33]
	v_add_f64 v[22:23], v[30:31], v[34:35]
	v_fmac_f64_e32 v[114:115], s[28:29], v[106:107]
	v_fmac_f64_e32 v[116:117], s[28:29], v[108:109]
	v_add_f64 v[92:93], v[104:105], v[118:119]
	v_add_f64 v[94:95], v[120:121], -v[102:103]
	v_add_f64 v[248:249], v[118:119], -v[104:105]
	v_add_f64 v[250:251], v[102:103], v[120:121]
	v_add_f64 v[102:103], v[28:29], -v[32:33]
	v_add_f64 v[104:105], v[30:31], -v[34:35]
	;; [unrolled: 1-line block ×6, first 2 shown]
	v_add_f64 v[106:107], v[16:17], v[12:13]
	v_add_f64 v[108:109], v[18:19], v[14:15]
	v_add_f64 v[110:111], v[16:17], -v[12:13]
	v_add_f64 v[112:113], v[18:19], -v[14:15]
	;; [unrolled: 1-line block ×3, first 2 shown]
	v_add_f64 v[20:21], v[24:25], v[20:21]
	v_add_f64 v[22:23], v[26:27], v[22:23]
	v_add_f64 v[16:17], v[8:9], -v[16:17]
	v_add_f64 v[18:19], v[10:11], -v[18:19]
	;; [unrolled: 1-line block ×3, first 2 shown]
	v_add_f64 v[24:25], v[106:107], v[8:9]
	v_add_f64 v[26:27], v[108:109], v[10:11]
	;; [unrolled: 1-line block ×4, first 2 shown]
	v_mul_f64 v[4:5], v[32:33], s[6:7]
	v_mul_f64 v[6:7], v[34:35], s[6:7]
	;; [unrolled: 1-line block ×8, first 2 shown]
	v_fma_f64 v[20:21], s[20:21], v[20:21], v[8:9]
	v_fma_f64 v[28:29], s[2:3], v[28:29], v[4:5]
	v_fma_f64 v[32:33], v[102:103], s[22:23], -v[32:33]
	v_fma_f64 v[34:35], v[104:105], s[22:23], -v[34:35]
	;; [unrolled: 1-line block ×4, first 2 shown]
	v_fmac_f64_e32 v[6:7], s[2:3], v[30:31]
	v_fma_f64 v[30:31], s[26:27], v[16:17], v[106:107]
	v_fma_f64 v[104:105], v[12:13], s[16:17], -v[106:107]
	v_fma_f64 v[106:107], v[14:15], s[16:17], -v[108:109]
	;; [unrolled: 1-line block ×4, first 2 shown]
	v_add_f64 v[32:33], v[32:33], v[20:21]
	v_add_f64 v[4:5], v[4:5], v[20:21]
	v_fmac_f64_e32 v[106:107], s[28:29], v[26:27]
	v_fmac_f64_e32 v[112:113], s[28:29], v[26:27]
	v_add_f64 v[28:29], v[28:29], v[20:21]
	v_fmac_f64_e32 v[30:31], s[28:29], v[24:25]
	v_fmac_f64_e32 v[104:105], s[28:29], v[24:25]
	v_fmac_f64_e32 v[110:111], s[28:29], v[24:25]
	v_add_f64 v[16:17], v[112:113], v[4:5]
	v_add_f64 v[20:21], v[32:33], -v[106:107]
	v_add_f64 v[24:25], v[106:107], v[32:33]
	v_add_f64 v[32:33], v[4:5], -v[112:113]
	v_mul_u32_u24_e32 v4, 0x54, v64
	v_add_lshl_u32 v4, v4, v65, 4
	v_add_f64 v[0:1], v[0:1], v[122:123]
	ds_write_b128 v4, v[36:39]
	ds_write_b128 v4, v[40:43] offset:192
	ds_write_b128 v4, v[44:47] offset:384
	;; [unrolled: 1-line block ×5, first 2 shown]
	v_accvgpr_write_b32 a224, v4
	ds_write_b128 v4, v[60:63] offset:1152
	v_mul_u32_u24_e32 v4, 0x54, v66
	v_add_f64 v[74:75], v[116:117], v[0:1]
	v_add_f64 v[76:77], v[2:3], -v[114:115]
	v_add_f64 v[0:1], v[0:1], -v[116:117]
	v_add_f64 v[2:3], v[114:115], v[2:3]
	v_add_lshl_u32 v4, v4, v67, 4
	v_fma_f64 v[22:23], s[20:21], v[22:23], v[10:11]
	v_fmac_f64_e32 v[108:109], s[26:27], v[18:19]
	ds_write_b128 v4, v[70:73]
	ds_write_b128 v4, v[74:77] offset:192
	ds_write_b128 v4, v[92:95] offset:384
	;; [unrolled: 1-line block ×5, first 2 shown]
	v_accvgpr_write_b32 a225, v4
	ds_write_b128 v4, v[0:3] offset:1152
	v_mul_u32_u24_e32 v4, 0x54, v68
	v_add_f64 v[6:7], v[6:7], v[22:23]
	v_add_f64 v[34:35], v[34:35], v[22:23]
	;; [unrolled: 1-line block ×3, first 2 shown]
	v_fmac_f64_e32 v[108:109], s[28:29], v[26:27]
	v_add_lshl_u32 v79, v4, v69, 4
	v_add_f64 v[12:13], v[108:109], v[28:29]
	v_add_f64 v[14:15], v[6:7], -v[30:31]
	v_add_f64 v[18:19], v[102:103], -v[110:111]
	v_add_f64 v[22:23], v[104:105], v[34:35]
	v_add_f64 v[26:27], v[34:35], -v[104:105]
	v_add_f64 v[34:35], v[110:111], v[102:103]
	;; [unrolled: 2-line block ×3, first 2 shown]
	ds_write_b128 v79, v[8:11]
	ds_write_b128 v79, v[12:15] offset:192
	ds_write_b128 v79, v[16:19] offset:384
	;; [unrolled: 1-line block ×6, first 2 shown]
	s_waitcnt lgkmcnt(0)
	; wave barrier
	s_waitcnt lgkmcnt(0)
	ds_read_b128 v[4:7], v78
	ds_read_b128 v[72:75], v78 offset:1344
	ds_read_b128 v[68:71], v78 offset:2688
	;; [unrolled: 1-line block ×10, first 2 shown]
	v_accvgpr_write_b32 a191, v149
	v_accvgpr_write_b32 a187, v145
	;; [unrolled: 1-line block ×44, first 2 shown]
	v_cmp_gt_u16_e64 s[2:3], 40, v180
	s_and_saveexec_b64 s[6:7], s[2:3]
	s_cbranch_execz .LBB0_13
; %bb.12:
	ds_read_b128 v[252:255], v78 offset:704
	ds_read_b128 v[248:251], v78 offset:2048
	ds_read_b128 v[0:3], v78 offset:3392
	ds_read_b128 v[8:11], v78 offset:4736
	ds_read_b128 v[12:15], v78 offset:6080
	ds_read_b128 v[16:19], v78 offset:7424
	ds_read_b128 v[20:23], v78 offset:8768
	ds_read_b128 v[24:27], v78 offset:10112
	ds_read_b128 v[32:35], v78 offset:11456
	ds_read_b128 v[28:31], v78 offset:12800
	ds_read_b128 v[244:247], v78 offset:14144
.LBB0_13:
	s_or_b64 exec, exec, s[6:7]
	s_movk_i32 s6, 0xa0
	v_mov_b64_e32 v[76:77], s[0:1]
	v_mad_u64_u32 v[76:77], s[6:7], v180, s6, v[76:77]
	global_load_dwordx4 v[216:219], v[76:77], off offset:1312
	global_load_dwordx4 v[208:211], v[76:77], off offset:1328
	;; [unrolled: 1-line block ×10, first 2 shown]
	v_subrev_u32_e32 v76, 40, v180
	v_cndmask_b32_e64 v76, v76, v96, s[2:3]
	v_mul_hi_i32_i24_e32 v77, 0xa0, v76
	v_mul_i32_i24_e32 v76, 0xa0, v76
	v_lshl_add_u64 v[76:77], s[0:1], 0, v[76:77]
	global_load_dwordx4 v[130:133], v[76:77], off offset:1312
	global_load_dwordx4 v[134:137], v[76:77], off offset:1328
	;; [unrolled: 1-line block ×10, first 2 shown]
	s_mov_b32 s6, 0xf8bb580b
	s_mov_b32 s22, 0x8eee2c13
	s_mov_b32 s20, 0x43842ef
	s_mov_b32 s26, 0xbb3a28a1
	s_mov_b32 s30, 0xfd768dbf
	s_mov_b32 s7, 0xbfe14ced
	s_mov_b32 s0, 0x8764f0ba
	s_mov_b32 s23, 0xbfed1bb4
	s_mov_b32 s16, 0xd9c712b6
	s_mov_b32 s21, 0xbfefac9e
	s_mov_b32 s18, 0x640f44db
	s_mov_b32 s27, 0xbfe82f19
	s_mov_b32 s24, 0x7f775887
	s_mov_b32 s31, 0xbfd207e7
	s_mov_b32 s28, 0x9bcd5057
	s_mov_b32 s1, 0x3feaeb8c
	s_mov_b32 s17, 0x3fda9628
	s_mov_b32 s19, 0xbfc2375f
	s_mov_b32 s25, 0xbfe4f49e
	s_mov_b32 s29, 0xbfeeb42a
	s_mov_b32 s35, 0x3fd207e7
	s_mov_b32 s34, s30
	s_mov_b32 s37, 0x3fefac9e
	s_mov_b32 s36, s20
	s_mov_b32 s39, 0x3fe14ced
	s_mov_b32 s38, s6
	s_mov_b32 s41, 0x3fed1bb4
	s_mov_b32 s40, s22
	s_waitcnt vmcnt(19) lgkmcnt(9)
	v_mul_f64 v[76:77], v[74:75], v[218:219]
	s_waitcnt vmcnt(18) lgkmcnt(8)
	v_mul_f64 v[108:109], v[68:69], v[210:211]
	;; [unrolled: 2-line block ×3, first 2 shown]
	v_mul_f64 v[106:107], v[70:71], v[210:211]
	v_mul_f64 v[110:111], v[66:67], v[176:177]
	s_waitcnt vmcnt(14) lgkmcnt(4)
	v_mul_f64 v[94:95], v[52:53], v[230:231]
	s_waitcnt vmcnt(13) lgkmcnt(3)
	;; [unrolled: 2-line block ×5, first 2 shown]
	v_mul_f64 v[128:129], v[36:37], v[238:239]
	v_mul_f64 v[126:127], v[38:39], v[238:239]
	v_fmac_f64_e32 v[128:129], v[38:39], v[236:237]
	s_waitcnt vmcnt(8)
	v_mul_f64 v[38:39], v[2:3], v[136:137]
	v_mul_f64 v[98:99], v[48:49], v[226:227]
	;; [unrolled: 1-line block ×4, first 2 shown]
	v_fmac_f64_e32 v[102:103], v[46:47], v[220:221]
	v_fmac_f64_e32 v[124:125], v[42:43], v[240:241]
	v_mul_f64 v[42:43], v[0:1], v[136:137]
	s_waitcnt vmcnt(6)
	v_mul_f64 v[46:47], v[12:13], v[144:145]
	v_fma_f64 v[38:39], v[0:1], v[134:135], -v[38:39]
	s_waitcnt vmcnt(4)
	v_mul_f64 v[0:1], v[22:23], v[160:161]
	v_mul_f64 v[116:117], v[54:55], v[230:231]
	v_fmac_f64_e32 v[108:109], v[70:71], v[208:209]
	v_fmac_f64_e32 v[100:101], v[66:67], v[174:175]
	;; [unrolled: 1-line block ×3, first 2 shown]
	v_fma_f64 v[54:55], v[48:49], v[224:225], -v[118:119]
	v_fmac_f64_e32 v[98:99], v[50:51], v[224:225]
	v_fma_f64 v[50:51], v[44:45], v[220:221], -v[120:121]
	v_mul_f64 v[48:49], v[10:11], v[140:141]
	v_mul_f64 v[44:45], v[8:9], v[140:141]
	;; [unrolled: 1-line block ×4, first 2 shown]
	v_fmac_f64_e32 v[46:47], v[14:15], v[142:143]
	v_fma_f64 v[14:15], v[20:21], v[158:159], -v[0:1]
	s_waitcnt vmcnt(3)
	v_mul_f64 v[0:1], v[26:27], v[152:153]
	v_fma_f64 v[8:9], v[8:9], v[138:139], -v[48:49]
	v_fmac_f64_e32 v[44:45], v[10:11], v[138:139]
	v_fma_f64 v[10:11], v[12:13], v[142:143], -v[66:67]
	v_fma_f64 v[12:13], v[16:17], v[162:163], -v[70:71]
	v_mul_f64 v[48:49], v[16:17], v[164:165]
	v_mul_f64 v[20:21], v[20:21], v[160:161]
	v_fma_f64 v[16:17], v[24:25], v[150:151], -v[0:1]
	s_waitcnt vmcnt(2)
	v_mul_f64 v[0:1], v[34:35], v[148:149]
	v_fmac_f64_e32 v[48:49], v[18:19], v[162:163]
	v_fmac_f64_e32 v[20:21], v[22:23], v[158:159]
	v_mul_f64 v[22:23], v[24:25], v[152:153]
	v_fma_f64 v[18:19], v[32:33], v[146:147], -v[0:1]
	s_waitcnt vmcnt(1)
	v_mul_f64 v[0:1], v[30:31], v[168:169]
	v_mul_f64 v[104:105], v[72:73], v[218:219]
	v_fma_f64 v[72:73], v[72:73], v[216:217], -v[76:77]
	v_fmac_f64_e32 v[22:23], v[26:27], v[150:151]
	v_fma_f64 v[26:27], v[28:29], v[166:167], -v[0:1]
	s_waitcnt vmcnt(0)
	v_mul_f64 v[0:1], v[246:247], v[156:157]
	v_fma_f64 v[68:69], v[68:69], v[208:209], -v[106:107]
	v_mul_f64 v[24:25], v[32:33], v[148:149]
	v_mul_f64 v[32:33], v[28:29], v[168:169]
	v_fma_f64 v[28:29], v[244:245], v[154:155], -v[0:1]
	v_add_f64 v[0:1], v[4:5], v[72:73]
	v_mul_f64 v[112:113], v[62:63], v[172:173]
	v_fmac_f64_e32 v[104:105], v[74:75], v[216:217]
	v_fma_f64 v[64:65], v[64:65], v[174:175], -v[110:111]
	v_add_f64 v[0:1], v[0:1], v[68:69]
	v_mul_f64 v[96:97], v[60:61], v[172:173]
	v_mul_f64 v[114:115], v[58:59], v[234:235]
	v_fma_f64 v[60:61], v[60:61], v[170:171], -v[112:113]
	v_fmac_f64_e32 v[42:43], v[2:3], v[134:135]
	v_add_f64 v[2:3], v[6:7], v[104:105]
	v_add_f64 v[0:1], v[0:1], v[64:65]
	v_mul_f64 v[92:93], v[56:57], v[234:235]
	v_fma_f64 v[56:57], v[56:57], v[232:233], -v[114:115]
	v_add_f64 v[2:3], v[2:3], v[108:109]
	v_add_f64 v[0:1], v[0:1], v[60:61]
	v_fmac_f64_e32 v[96:97], v[62:63], v[170:171]
	v_fma_f64 v[52:53], v[52:53], v[228:229], -v[116:117]
	v_add_f64 v[2:3], v[2:3], v[100:101]
	v_add_f64 v[0:1], v[0:1], v[56:57]
	v_fmac_f64_e32 v[92:93], v[58:59], v[232:233]
	v_add_f64 v[2:3], v[2:3], v[96:97]
	v_add_f64 v[0:1], v[0:1], v[52:53]
	;; [unrolled: 1-line block ×4, first 2 shown]
	v_fma_f64 v[58:59], v[40:41], v[240:241], -v[122:123]
	v_add_f64 v[2:3], v[2:3], v[94:95]
	v_add_f64 v[0:1], v[0:1], v[50:51]
	v_fma_f64 v[62:63], v[36:37], v[236:237], -v[126:127]
	v_add_f64 v[2:3], v[2:3], v[98:99]
	v_add_f64 v[0:1], v[0:1], v[58:59]
	v_mul_f64 v[36:37], v[250:251], v[132:133]
	v_mul_f64 v[40:41], v[248:249], v[132:133]
	v_accvgpr_write_b32 a94, v130
	v_fmac_f64_e32 v[24:25], v[34:35], v[146:147]
	v_add_f64 v[2:3], v[2:3], v[102:103]
	v_add_f64 v[0:1], v[0:1], v[62:63]
	v_add_f64 v[34:35], v[72:73], v[62:63]
	v_add_f64 v[62:63], v[72:73], -v[62:63]
	v_add_f64 v[70:71], v[104:105], -v[128:129]
	v_fma_f64 v[36:37], v[248:249], v[130:131], -v[36:37]
	v_accvgpr_write_b32 a95, v131
	v_accvgpr_write_b32 a96, v132
	;; [unrolled: 1-line block ×3, first 2 shown]
	v_fmac_f64_e32 v[40:41], v[250:251], v[130:131]
	v_accvgpr_write_b32 a98, v134
	v_add_f64 v[2:3], v[2:3], v[124:125]
	v_add_f64 v[66:67], v[104:105], v[128:129]
	v_mul_f64 v[72:73], v[70:71], s[6:7]
	v_mul_f64 v[76:77], v[62:63], s[6:7]
	;; [unrolled: 1-line block ×10, first 2 shown]
	v_accvgpr_write_b32 a99, v135
	v_accvgpr_write_b32 a100, v136
	;; [unrolled: 1-line block ×3, first 2 shown]
	v_add_f64 v[2:3], v[2:3], v[128:129]
	v_fma_f64 v[74:75], v[34:35], s[0:1], -v[72:73]
	v_fma_f64 v[104:105], s[0:1], v[66:67], v[76:77]
	v_fmac_f64_e32 v[72:73], s[0:1], v[34:35]
	v_fma_f64 v[76:77], v[66:67], s[0:1], -v[76:77]
	v_fma_f64 v[110:111], v[34:35], s[16:17], -v[106:107]
	v_fma_f64 v[114:115], s[16:17], v[66:67], v[112:113]
	v_fmac_f64_e32 v[106:107], s[16:17], v[34:35]
	v_fma_f64 v[112:113], v[66:67], s[16:17], -v[112:113]
	;; [unrolled: 4-line block ×5, first 2 shown]
	v_add_f64 v[66:67], v[108:109], -v[124:125]
	v_add_f64 v[104:105], v[6:7], v[104:105]
	v_add_f64 v[76:77], v[6:7], v[76:77]
	;; [unrolled: 1-line block ×11, first 2 shown]
	v_add_f64 v[58:59], v[68:69], -v[58:59]
	v_mul_f64 v[68:69], v[66:67], s[22:23]
	v_add_f64 v[74:75], v[4:5], v[74:75]
	v_add_f64 v[72:73], v[4:5], v[72:73]
	;; [unrolled: 1-line block ×10, first 2 shown]
	v_fma_f64 v[70:71], v[34:35], s[16:17], -v[68:69]
	v_add_f64 v[62:63], v[108:109], v[124:125]
	v_add_f64 v[70:71], v[70:71], v[74:75]
	v_mul_f64 v[74:75], v[58:59], s[22:23]
	v_fmac_f64_e32 v[68:69], s[16:17], v[34:35]
	v_fma_f64 v[108:109], s[16:17], v[62:63], v[74:75]
	v_add_f64 v[68:69], v[68:69], v[72:73]
	v_fma_f64 v[72:73], v[62:63], s[16:17], -v[74:75]
	v_mul_f64 v[74:75], v[66:67], s[26:27]
	v_add_f64 v[104:105], v[108:109], v[104:105]
	v_add_f64 v[72:73], v[72:73], v[76:77]
	v_fma_f64 v[76:77], v[34:35], s[24:25], -v[74:75]
	v_mul_f64 v[108:109], v[58:59], s[26:27]
	v_fmac_f64_e32 v[74:75], s[24:25], v[34:35]
	v_add_f64 v[76:77], v[76:77], v[110:111]
	v_fma_f64 v[110:111], s[24:25], v[62:63], v[108:109]
	v_add_f64 v[74:75], v[74:75], v[106:107]
	v_fma_f64 v[106:107], v[62:63], s[24:25], -v[108:109]
	v_mul_f64 v[108:109], v[66:67], s[34:35]
	v_add_f64 v[110:111], v[110:111], v[114:115]
	v_add_f64 v[106:107], v[106:107], v[112:113]
	v_fma_f64 v[112:113], v[34:35], s[28:29], -v[108:109]
	v_mul_f64 v[114:115], v[58:59], s[34:35]
	v_fmac_f64_e32 v[108:109], s[28:29], v[34:35]
	v_add_f64 v[112:113], v[112:113], v[118:119]
	v_fma_f64 v[118:119], s[28:29], v[62:63], v[114:115]
	v_add_f64 v[108:109], v[108:109], v[116:117]
	v_fma_f64 v[114:115], v[62:63], s[28:29], -v[114:115]
	v_mul_f64 v[116:117], v[66:67], s[36:37]
	v_add_f64 v[118:119], v[118:119], v[122:123]
	v_add_f64 v[114:115], v[114:115], v[120:121]
	v_fma_f64 v[120:121], v[34:35], s[18:19], -v[116:117]
	v_mul_f64 v[122:123], v[58:59], s[36:37]
	v_fmac_f64_e32 v[116:117], s[18:19], v[34:35]
	v_mul_f64 v[66:67], v[66:67], s[38:39]
	v_mul_f64 v[58:59], v[58:59], s[38:39]
	v_add_f64 v[120:121], v[120:121], v[128:129]
	v_fma_f64 v[124:125], s[18:19], v[62:63], v[122:123]
	v_add_f64 v[116:117], v[116:117], v[126:127]
	v_fma_f64 v[122:123], v[62:63], s[18:19], -v[122:123]
	v_fma_f64 v[126:127], v[34:35], s[0:1], -v[66:67]
	v_fma_f64 v[128:129], s[0:1], v[62:63], v[58:59]
	v_fmac_f64_e32 v[66:67], s[0:1], v[34:35]
	v_fma_f64 v[34:35], v[62:63], s[0:1], -v[58:59]
	v_add_f64 v[62:63], v[100:101], -v[102:103]
	v_add_f64 v[6:7], v[34:35], v[6:7]
	v_add_f64 v[34:35], v[64:65], v[50:51]
	v_add_f64 v[50:51], v[64:65], -v[50:51]
	v_mul_f64 v[64:65], v[62:63], s[20:21]
	v_add_f64 v[4:5], v[66:67], v[4:5]
	v_fma_f64 v[66:67], v[34:35], s[18:19], -v[64:65]
	v_add_f64 v[58:59], v[100:101], v[102:103]
	v_add_f64 v[66:67], v[66:67], v[70:71]
	v_mul_f64 v[70:71], v[50:51], s[20:21]
	v_fmac_f64_e32 v[64:65], s[18:19], v[34:35]
	v_fma_f64 v[100:101], s[18:19], v[58:59], v[70:71]
	v_add_f64 v[64:65], v[64:65], v[68:69]
	v_fma_f64 v[68:69], v[58:59], s[18:19], -v[70:71]
	v_mul_f64 v[70:71], v[62:63], s[34:35]
	v_add_f64 v[68:69], v[68:69], v[72:73]
	v_fma_f64 v[72:73], v[34:35], s[28:29], -v[70:71]
	v_add_f64 v[72:73], v[72:73], v[76:77]
	v_mul_f64 v[76:77], v[50:51], s[34:35]
	v_fmac_f64_e32 v[70:71], s[28:29], v[34:35]
	v_fma_f64 v[102:103], s[28:29], v[58:59], v[76:77]
	v_add_f64 v[70:71], v[70:71], v[74:75]
	v_fma_f64 v[74:75], v[58:59], s[28:29], -v[76:77]
	v_mul_f64 v[76:77], v[62:63], s[40:41]
	v_add_f64 v[100:101], v[100:101], v[104:105]
	v_add_f64 v[74:75], v[74:75], v[106:107]
	v_fma_f64 v[104:105], v[34:35], s[16:17], -v[76:77]
	v_mul_f64 v[106:107], v[50:51], s[40:41]
	v_fmac_f64_e32 v[76:77], s[16:17], v[34:35]
	v_add_f64 v[102:103], v[102:103], v[110:111]
	v_fma_f64 v[110:111], s[16:17], v[58:59], v[106:107]
	v_add_f64 v[76:77], v[76:77], v[108:109]
	v_fma_f64 v[106:107], v[58:59], s[16:17], -v[106:107]
	v_mul_f64 v[108:109], v[62:63], s[6:7]
	v_add_f64 v[104:105], v[104:105], v[112:113]
	v_add_f64 v[106:107], v[106:107], v[114:115]
	v_fma_f64 v[112:113], v[34:35], s[0:1], -v[108:109]
	v_mul_f64 v[114:115], v[50:51], s[6:7]
	v_fmac_f64_e32 v[108:109], s[0:1], v[34:35]
	v_mul_f64 v[62:63], v[62:63], s[26:27]
	v_mul_f64 v[50:51], v[50:51], s[26:27]
	v_add_f64 v[110:111], v[110:111], v[118:119]
	v_add_f64 v[112:113], v[112:113], v[120:121]
	v_fma_f64 v[118:119], s[0:1], v[58:59], v[114:115]
	v_add_f64 v[108:109], v[108:109], v[116:117]
	v_fma_f64 v[114:115], v[58:59], s[0:1], -v[114:115]
	v_fma_f64 v[116:117], v[34:35], s[24:25], -v[62:63]
	v_fma_f64 v[120:121], s[24:25], v[58:59], v[50:51]
	v_fmac_f64_e32 v[62:63], s[24:25], v[34:35]
	v_fma_f64 v[34:35], v[58:59], s[24:25], -v[50:51]
	v_add_f64 v[58:59], v[96:97], -v[98:99]
	v_add_f64 v[6:7], v[34:35], v[6:7]
	v_add_f64 v[34:35], v[60:61], v[54:55]
	v_add_f64 v[54:55], v[60:61], -v[54:55]
	v_mul_f64 v[60:61], v[58:59], s[26:27]
	v_add_f64 v[4:5], v[62:63], v[4:5]
	v_fma_f64 v[62:63], v[34:35], s[24:25], -v[60:61]
	v_add_f64 v[50:51], v[96:97], v[98:99]
	v_add_f64 v[62:63], v[62:63], v[66:67]
	v_mul_f64 v[66:67], v[54:55], s[26:27]
	v_fmac_f64_e32 v[60:61], s[24:25], v[34:35]
	v_fma_f64 v[96:97], s[24:25], v[50:51], v[66:67]
	v_add_f64 v[60:61], v[60:61], v[64:65]
	v_fma_f64 v[64:65], v[50:51], s[24:25], -v[66:67]
	v_mul_f64 v[66:67], v[58:59], s[36:37]
	v_add_f64 v[64:65], v[64:65], v[68:69]
	v_fma_f64 v[68:69], v[34:35], s[18:19], -v[66:67]
	v_add_f64 v[68:69], v[68:69], v[72:73]
	v_mul_f64 v[72:73], v[54:55], s[36:37]
	v_fmac_f64_e32 v[66:67], s[18:19], v[34:35]
	v_fma_f64 v[98:99], s[18:19], v[50:51], v[72:73]
	v_add_f64 v[66:67], v[66:67], v[70:71]
	v_fma_f64 v[70:71], v[50:51], s[18:19], -v[72:73]
	v_mul_f64 v[72:73], v[58:59], s[6:7]
	v_add_f64 v[96:97], v[96:97], v[100:101]
	v_add_f64 v[70:71], v[70:71], v[74:75]
	v_fma_f64 v[74:75], v[34:35], s[0:1], -v[72:73]
	v_mul_f64 v[100:101], v[54:55], s[6:7]
	v_fmac_f64_e32 v[72:73], s[0:1], v[34:35]
	v_add_f64 v[98:99], v[98:99], v[102:103]
	v_fma_f64 v[102:103], s[0:1], v[50:51], v[100:101]
	v_add_f64 v[72:73], v[72:73], v[76:77]
	v_fma_f64 v[76:77], v[50:51], s[0:1], -v[100:101]
	v_mul_f64 v[100:101], v[58:59], s[30:31]
	v_add_f64 v[74:75], v[74:75], v[104:105]
	v_add_f64 v[76:77], v[76:77], v[106:107]
	v_fma_f64 v[104:105], v[34:35], s[28:29], -v[100:101]
	v_mul_f64 v[106:107], v[54:55], s[30:31]
	v_fmac_f64_e32 v[100:101], s[28:29], v[34:35]
	v_mul_f64 v[58:59], v[58:59], s[40:41]
	v_mul_f64 v[54:55], v[54:55], s[40:41]
	v_add_f64 v[104:105], v[104:105], v[112:113]
	v_add_f64 v[100:101], v[100:101], v[108:109]
	v_fma_f64 v[108:109], v[34:35], s[16:17], -v[58:59]
	v_fma_f64 v[112:113], s[16:17], v[50:51], v[54:55]
	v_fmac_f64_e32 v[58:59], s[16:17], v[34:35]
	v_fma_f64 v[34:35], v[50:51], s[16:17], -v[54:55]
	v_add_f64 v[54:55], v[92:93], -v[94:95]
	v_add_f64 v[6:7], v[34:35], v[6:7]
	v_add_f64 v[34:35], v[56:57], v[52:53]
	v_add_f64 v[52:53], v[56:57], -v[52:53]
	v_mul_f64 v[56:57], v[54:55], s[30:31]
	v_accvgpr_write_b32 a102, v138
	v_add_f64 v[4:5], v[58:59], v[4:5]
	v_fma_f64 v[58:59], v[34:35], s[28:29], -v[56:57]
	v_accvgpr_write_b32 a103, v139
	v_accvgpr_write_b32 a104, v140
	v_accvgpr_write_b32 a105, v141
	v_accvgpr_write_b32 a112, v142
	v_add_f64 v[102:103], v[102:103], v[110:111]
	v_fma_f64 v[110:111], s[28:29], v[50:51], v[106:107]
	v_fma_f64 v[106:107], v[50:51], s[28:29], -v[106:107]
	v_add_f64 v[50:51], v[92:93], v[94:95]
	v_add_f64 v[138:139], v[58:59], v[62:63]
	v_mul_f64 v[58:59], v[52:53], s[30:31]
	v_fmac_f64_e32 v[56:57], s[28:29], v[34:35]
	v_accvgpr_write_b32 a113, v143
	v_accvgpr_write_b32 a114, v144
	;; [unrolled: 1-line block ×3, first 2 shown]
	v_add_f64 v[142:143], v[56:57], v[60:61]
	v_fma_f64 v[56:57], v[50:51], s[28:29], -v[58:59]
	v_add_f64 v[144:145], v[56:57], v[64:65]
	v_mul_f64 v[56:57], v[54:55], s[38:39]
	v_accvgpr_write_b32 a122, v146
	v_fma_f64 v[62:63], s[28:29], v[50:51], v[58:59]
	v_fma_f64 v[58:59], v[34:35], s[0:1], -v[56:57]
	v_accvgpr_write_b32 a126, v150
	v_accvgpr_write_b32 a123, v147
	;; [unrolled: 1-line block ×4, first 2 shown]
	v_add_f64 v[146:147], v[58:59], v[68:69]
	v_mul_f64 v[58:59], v[52:53], s[38:39]
	v_fmac_f64_e32 v[56:57], s[0:1], v[34:35]
	v_accvgpr_write_b32 a127, v151
	v_accvgpr_write_b32 a128, v152
	;; [unrolled: 1-line block ×3, first 2 shown]
	v_add_f64 v[150:151], v[56:57], v[66:67]
	v_fma_f64 v[56:57], v[50:51], s[0:1], -v[58:59]
	v_add_f64 v[152:153], v[56:57], v[70:71]
	v_mul_f64 v[56:57], v[54:55], s[26:27]
	v_fmac_f64_e32 v[32:33], v[30:31], v[166:167]
	v_mul_f64 v[30:31], v[244:245], v[156:157]
	v_accvgpr_write_b32 a130, v154
	v_fma_f64 v[60:61], s[0:1], v[50:51], v[58:59]
	v_fma_f64 v[58:59], v[34:35], s[24:25], -v[56:57]
	v_accvgpr_write_b32 a134, v158
	v_accvgpr_write_b32 a131, v155
	;; [unrolled: 1-line block ×4, first 2 shown]
	v_fmac_f64_e32 v[30:31], v[246:247], v[154:155]
	v_add_f64 v[154:155], v[58:59], v[74:75]
	v_mul_f64 v[58:59], v[52:53], s[26:27]
	v_fmac_f64_e32 v[56:57], s[24:25], v[34:35]
	v_accvgpr_write_b32 a135, v159
	v_accvgpr_write_b32 a136, v160
	;; [unrolled: 1-line block ×3, first 2 shown]
	v_add_f64 v[158:159], v[56:57], v[72:73]
	v_fma_f64 v[56:57], v[50:51], s[24:25], -v[58:59]
	v_add_f64 v[160:161], v[56:57], v[76:77]
	v_mul_f64 v[56:57], v[54:55], s[40:41]
	v_accvgpr_write_b32 a138, v162
	v_add_f64 v[122:123], v[122:123], v[130:131]
	v_add_f64 v[148:149], v[60:61], v[98:99]
	v_fma_f64 v[60:61], s[24:25], v[50:51], v[58:59]
	v_fma_f64 v[58:59], v[34:35], s[16:17], -v[56:57]
	v_accvgpr_write_b32 a139, v163
	v_accvgpr_write_b32 a140, v164
	;; [unrolled: 1-line block ×4, first 2 shown]
	v_add_f64 v[114:115], v[114:115], v[122:123]
	v_add_f64 v[162:163], v[58:59], v[104:105]
	v_mul_f64 v[58:59], v[52:53], s[40:41]
	v_fmac_f64_e32 v[56:57], s[16:17], v[34:35]
	v_accvgpr_write_b32 a145, v167
	v_accvgpr_write_b32 a146, v168
	;; [unrolled: 1-line block ×3, first 2 shown]
	v_add_f64 v[106:107], v[106:107], v[114:115]
	v_add_f64 v[166:167], v[56:57], v[100:101]
	v_fma_f64 v[56:57], v[50:51], s[16:17], -v[58:59]
	v_mul_f64 v[54:55], v[54:55], s[20:21]
	v_accvgpr_write_b32 a233, v177
	v_add_f64 v[126:127], v[126:127], v[134:135]
	v_add_f64 v[168:169], v[56:57], v[106:107]
	v_fma_f64 v[56:57], v[34:35], s[18:19], -v[54:55]
	v_mul_f64 v[52:53], v[52:53], s[20:21]
	v_fmac_f64_e32 v[54:55], s[18:19], v[34:35]
	v_accvgpr_write_b32 a232, v176
	v_accvgpr_write_b32 a231, v175
	;; [unrolled: 1-line block ×3, first 2 shown]
	v_add_f64 v[128:129], v[128:129], v[136:137]
	v_add_f64 v[116:117], v[116:117], v[126:127]
	;; [unrolled: 1-line block ×3, first 2 shown]
	v_fma_f64 v[4:5], v[50:51], s[18:19], -v[52:53]
	v_add_f64 v[74:75], v[40:41], -v[30:31]
	v_accvgpr_write_b32 a229, v173
	v_add_f64 v[124:125], v[124:125], v[132:133]
	v_add_f64 v[120:121], v[120:121], v[128:129]
	;; [unrolled: 1-line block ×4, first 2 shown]
	v_fma_f64 v[60:61], s[16:17], v[50:51], v[58:59]
	v_add_f64 v[176:177], v[4:5], v[6:7]
	v_add_f64 v[58:59], v[36:37], v[28:29]
	v_add_f64 v[64:65], v[36:37], -v[28:29]
	v_mul_f64 v[4:5], v[74:75], s[6:7]
	v_accvgpr_write_b32 a228, v172
	v_accvgpr_write_b32 a227, v171
	;; [unrolled: 1-line block ×3, first 2 shown]
	v_add_f64 v[118:119], v[118:119], v[124:125]
	v_add_f64 v[112:113], v[112:113], v[120:121]
	;; [unrolled: 1-line block ×3, first 2 shown]
	v_fma_f64 v[56:57], s[18:19], v[50:51], v[52:53]
	v_add_f64 v[100:101], v[40:41], v[30:31]
	v_mul_f64 v[6:7], v[64:65], s[6:7]
	v_fma_f64 v[34:35], s[0:1], v[58:59], v[4:5]
	v_add_f64 v[110:111], v[110:111], v[118:119]
	v_add_f64 v[172:173], v[56:57], v[112:113]
	;; [unrolled: 1-line block ×3, first 2 shown]
	v_fma_f64 v[34:35], v[100:101], s[0:1], -v[6:7]
	v_mul_f64 v[50:51], v[74:75], s[22:23]
	v_add_f64 v[164:165], v[60:61], v[110:111]
	v_add_f64 v[60:61], v[254:255], v[34:35]
	v_mul_f64 v[54:55], v[64:65], s[22:23]
	v_fma_f64 v[34:35], s[16:17], v[58:59], v[50:51]
	v_add_f64 v[140:141], v[62:63], v[96:97]
	v_add_f64 v[62:63], v[252:253], v[34:35]
	v_fma_f64 v[34:35], v[100:101], s[16:17], -v[54:55]
	v_add_f64 v[102:103], v[42:43], -v[32:33]
	v_add_f64 v[66:67], v[254:255], v[34:35]
	v_add_f64 v[70:71], v[38:39], v[26:27]
	v_add_f64 v[94:95], v[38:39], -v[26:27]
	v_mul_f64 v[34:35], v[102:103], s[22:23]
	v_add_f64 v[108:109], v[42:43], v[32:33]
	v_mul_f64 v[52:53], v[94:95], s[22:23]
	v_fma_f64 v[68:69], s[16:17], v[70:71], v[34:35]
	v_add_f64 v[72:73], v[68:69], v[56:57]
	v_fma_f64 v[56:57], v[108:109], s[16:17], -v[52:53]
	v_add_f64 v[76:77], v[56:57], v[60:61]
	v_mul_f64 v[60:61], v[102:103], s[26:27]
	v_mul_f64 v[68:69], v[94:95], s[26:27]
	v_fma_f64 v[56:57], s[24:25], v[70:71], v[60:61]
	v_add_f64 v[114:115], v[56:57], v[62:63]
	v_fma_f64 v[56:57], v[108:109], s[24:25], -v[68:69]
	v_add_f64 v[118:119], v[44:45], -v[24:25]
	v_add_f64 v[120:121], v[56:57], v[66:67]
	v_add_f64 v[96:97], v[8:9], v[18:19]
	v_add_f64 v[104:105], v[8:9], -v[18:19]
	v_mul_f64 v[56:57], v[118:119], s[20:21]
	v_add_f64 v[126:127], v[44:45], v[24:25]
	v_mul_f64 v[62:63], v[104:105], s[20:21]
	v_fma_f64 v[66:67], s[18:19], v[96:97], v[56:57]
	v_add_f64 v[92:93], v[66:67], v[72:73]
	v_fma_f64 v[66:67], v[126:127], s[18:19], -v[62:63]
	v_add_f64 v[130:131], v[46:47], -v[22:23]
	v_add_f64 v[76:77], v[66:67], v[76:77]
	v_add_f64 v[106:107], v[10:11], v[16:17]
	v_add_f64 v[112:113], v[10:11], -v[16:17]
	v_mul_f64 v[66:67], v[130:131], s[26:27]
	v_add_f64 v[132:133], v[46:47], v[22:23]
	;; [unrolled: 10-line block ×3, first 2 shown]
	v_mul_f64 v[98:99], v[128:129], s[30:31]
	v_fma_f64 v[122:123], s[28:29], v[116:117], v[92:93]
	v_add_f64 v[244:245], v[122:123], v[110:111]
	v_fma_f64 v[110:111], v[136:137], s[28:29], -v[98:99]
	v_add_f64 v[246:247], v[110:111], v[76:77]
	v_mul_f64 v[110:111], v[118:119], s[34:35]
	v_fma_f64 v[76:77], s[28:29], v[96:97], v[110:111]
	v_mul_f64 v[122:123], v[104:105], s[34:35]
	v_add_f64 v[76:77], v[76:77], v[114:115]
	v_fma_f64 v[114:115], v[126:127], s[28:29], -v[122:123]
	v_add_f64 v[120:121], v[114:115], v[120:121]
	v_mul_f64 v[114:115], v[130:131], s[36:37]
	v_fma_f64 v[124:125], s[18:19], v[106:107], v[114:115]
	v_add_f64 v[76:77], v[124:125], v[76:77]
	v_mul_f64 v[124:125], v[112:113], s[36:37]
	v_fma_f64 v[248:249], v[132:133], s[18:19], -v[124:125]
	v_add_f64 v[250:251], v[248:249], v[120:121]
	v_mul_f64 v[120:121], v[134:135], s[38:39]
	v_fma_f64 v[248:249], s[0:1], v[116:117], v[120:121]
	v_add_f64 v[248:249], v[248:249], v[76:77]
	v_mul_f64 v[76:77], v[128:129], s[38:39]
	v_accvgpr_write_b32 a237, v211
	v_fma_f64 v[178:179], v[136:137], s[0:1], -v[76:77]
	v_accvgpr_write_b32 a236, v210
	v_accvgpr_write_b32 a235, v209
	;; [unrolled: 1-line block ×3, first 2 shown]
	v_add_f64 v[250:251], v[178:179], v[250:251]
	ds_write_b128 v78, v[0:3]
	ds_write_b128 v78, v[138:141] offset:1344
	ds_write_b128 v78, v[146:149] offset:2688
	ds_write_b128 v78, v[154:157] offset:4032
	ds_write_b128 v78, v[162:165] offset:5376
	ds_write_b128 v78, v[170:173] offset:6720
	ds_write_b128 v78, v[174:177] offset:8064
	ds_write_b128 v78, v[166:169] offset:9408
	ds_write_b128 v78, v[158:161] offset:10752
	ds_write_b128 v78, v[150:153] offset:12096
	ds_write_b128 v78, v[142:145] offset:13440
	s_and_saveexec_b64 s[42:43], s[2:3]
	s_cbranch_execz .LBB0_15
; %bb.14:
	v_accvgpr_write_b32 a10, v190
	v_accvgpr_write_b32 a11, v191
	;; [unrolled: 1-line block ×4, first 2 shown]
	v_mul_f64 v[190:191], v[100:101], s[28:29]
	v_mul_f64 v[146:147], v[108:109], s[0:1]
	v_fma_f64 v[192:193], s[34:35], v[64:65], v[190:191]
	v_accvgpr_write_b32 a22, v202
	v_fmac_f64_e32 v[190:191], s[30:31], v[64:65]
	v_mul_f64 v[142:143], v[126:127], s[24:25]
	s_mov_b32 s45, 0x3fe82f19
	s_mov_b32 s44, s26
	v_fma_f64 v[148:149], s[6:7], v[94:95], v[146:147]
	v_add_f64 v[192:193], v[254:255], v[192:193]
	v_accvgpr_write_b32 a18, v198
	v_accvgpr_write_b32 a23, v203
	v_accvgpr_write_b32 a24, v204
	v_accvgpr_write_b32 a25, v205
	v_mul_f64 v[202:203], v[74:75], s[30:31]
	v_fmac_f64_e32 v[146:147], s[38:39], v[94:95]
	v_add_f64 v[190:191], v[254:255], v[190:191]
	v_mul_f64 v[140:141], v[132:133], s[16:17]
	v_fma_f64 v[144:145], s[44:45], v[104:105], v[142:143]
	v_add_f64 v[148:149], v[148:149], v[192:193]
	v_accvgpr_write_b32 a14, v194
	v_accvgpr_write_b32 a19, v199
	;; [unrolled: 1-line block ×4, first 2 shown]
	v_mul_f64 v[198:199], v[102:103], s[38:39]
	v_fma_f64 v[204:205], s[28:29], v[58:59], v[202:203]
	v_fmac_f64_e32 v[142:143], s[26:27], v[104:105]
	v_add_f64 v[146:147], v[146:147], v[190:191]
	v_mul_f64 v[138:139], v[136:137], s[18:19]
	v_fma_f64 v[2:3], s[22:23], v[112:113], v[140:141]
	v_add_f64 v[144:145], v[144:145], v[148:149]
	v_mul_f64 v[148:149], v[130:131], s[40:41]
	v_accvgpr_write_b32 a15, v195
	v_accvgpr_write_b32 a16, v196
	;; [unrolled: 1-line block ×3, first 2 shown]
	v_mul_f64 v[194:195], v[118:119], s[26:27]
	v_fma_f64 v[200:201], s[0:1], v[70:71], v[198:199]
	v_add_f64 v[204:205], v[252:253], v[204:205]
	v_fmac_f64_e32 v[140:141], s[40:41], v[112:113]
	v_add_f64 v[142:143], v[142:143], v[146:147]
	v_fma_f64 v[0:1], s[36:37], v[128:129], v[138:139]
	v_add_f64 v[2:3], v[2:3], v[144:145]
	v_mul_f64 v[144:145], v[134:135], s[20:21]
	v_fma_f64 v[192:193], s[16:17], v[106:107], v[148:149]
	v_fma_f64 v[196:197], s[24:25], v[96:97], v[194:195]
	v_add_f64 v[200:201], v[200:201], v[204:205]
	v_fmac_f64_e32 v[138:139], s[20:21], v[128:129]
	v_add_f64 v[140:141], v[140:141], v[142:143]
	v_fma_f64 v[142:143], v[106:107], s[16:17], -v[148:149]
	v_fma_f64 v[146:147], v[70:71], s[0:1], -v[198:199]
	;; [unrolled: 1-line block ×3, first 2 shown]
	v_mul_f64 v[198:199], v[100:101], s[24:25]
	v_add_f64 v[2:3], v[0:1], v[2:3]
	v_fma_f64 v[0:1], s[18:19], v[116:117], v[144:145]
	v_add_f64 v[196:197], v[196:197], v[200:201]
	v_add_f64 v[140:141], v[138:139], v[140:141]
	v_fma_f64 v[138:139], v[116:117], s[18:19], -v[144:145]
	v_fma_f64 v[144:145], v[96:97], s[24:25], -v[194:195]
	v_add_f64 v[148:149], v[252:253], v[148:149]
	v_mul_f64 v[194:195], v[108:109], s[18:19]
	v_fma_f64 v[200:201], s[44:45], v[64:65], v[198:199]
	v_fmac_f64_e32 v[198:199], s[26:27], v[64:65]
	v_add_f64 v[192:193], v[192:193], v[196:197]
	v_add_f64 v[146:147], v[146:147], v[148:149]
	v_mul_f64 v[190:191], v[126:127], s[0:1]
	v_fma_f64 v[196:197], s[20:21], v[94:95], v[194:195]
	v_add_f64 v[200:201], v[254:255], v[200:201]
	v_fmac_f64_e32 v[194:195], s[36:37], v[94:95]
	v_add_f64 v[198:199], v[254:255], v[198:199]
	v_add_f64 v[0:1], v[0:1], v[192:193]
	;; [unrolled: 1-line block ×3, first 2 shown]
	v_mul_f64 v[148:149], v[132:133], s[28:29]
	v_fma_f64 v[192:193], s[38:39], v[104:105], v[190:191]
	v_add_f64 v[196:197], v[196:197], v[200:201]
	v_mul_f64 v[210:211], v[74:75], s[26:27]
	v_fmac_f64_e32 v[190:191], s[6:7], v[104:105]
	v_add_f64 v[194:195], v[194:195], v[198:199]
	v_mul_f64 v[150:151], v[58:59], s[0:1]
	v_add_f64 v[142:143], v[142:143], v[144:145]
	v_fma_f64 v[144:145], s[34:35], v[112:113], v[148:149]
	v_add_f64 v[192:193], v[192:193], v[196:197]
	v_mul_f64 v[196:197], v[130:131], s[30:31]
	v_accvgpr_write_b32 a26, v206
	v_accvgpr_write_b32 a27, v207
	v_mul_f64 v[206:207], v[102:103], s[36:37]
	v_accvgpr_write_b32 a84, v212
	v_accvgpr_write_b32 a85, v213
	v_fma_f64 v[212:213], s[24:25], v[58:59], v[210:211]
	v_fmac_f64_e32 v[148:149], s[30:31], v[112:113]
	v_add_f64 v[190:191], v[190:191], v[194:195]
	v_mul_f64 v[158:159], v[70:71], s[16:17]
	v_mul_f64 v[146:147], v[136:137], s[16:17]
	v_fma_f64 v[200:201], s[28:29], v[106:107], v[196:197]
	v_mul_f64 v[202:203], v[118:119], s[6:7]
	v_fma_f64 v[208:209], s[18:19], v[70:71], v[206:207]
	v_add_f64 v[212:213], v[252:253], v[212:213]
	v_add_f64 v[148:149], v[148:149], v[190:191]
	v_fma_f64 v[190:191], v[106:107], s[28:29], -v[196:197]
	v_fma_f64 v[196:197], v[58:59], s[24:25], -v[210:211]
	v_add_f64 v[4:5], v[150:151], -v[4:5]
	v_mul_f64 v[152:153], v[100:101], s[0:1]
	v_mul_f64 v[156:157], v[100:101], s[16:17]
	v_add_f64 v[138:139], v[138:139], v[142:143]
	v_fma_f64 v[142:143], s[22:23], v[128:129], v[146:147]
	v_add_f64 v[144:145], v[144:145], v[192:193]
	v_mul_f64 v[192:193], v[134:135], s[40:41]
	v_fma_f64 v[204:205], s[0:1], v[96:97], v[202:203]
	v_add_f64 v[208:209], v[208:209], v[212:213]
	v_fmac_f64_e32 v[146:147], s[40:41], v[128:129]
	v_fma_f64 v[194:195], v[70:71], s[18:19], -v[206:207]
	v_add_f64 v[196:197], v[252:253], v[196:197]
	v_mul_f64 v[100:101], v[100:101], s[18:19]
	v_add_f64 v[34:35], v[158:159], -v[34:35]
	v_add_f64 v[4:5], v[252:253], v[4:5]
	v_mul_f64 v[160:161], v[108:109], s[16:17]
	v_mul_f64 v[164:165], v[108:109], s[24:25]
	v_add_f64 v[144:145], v[142:143], v[144:145]
	v_fma_f64 v[142:143], s[16:17], v[116:117], v[192:193]
	v_add_f64 v[204:205], v[204:205], v[208:209]
	v_add_f64 v[148:149], v[146:147], v[148:149]
	v_fma_f64 v[146:147], v[116:117], s[16:17], -v[192:193]
	v_fma_f64 v[192:193], v[96:97], s[0:1], -v[202:203]
	v_add_f64 v[194:195], v[194:195], v[196:197]
	v_mul_f64 v[108:109], v[108:109], s[28:29]
	v_fma_f64 v[198:199], s[36:37], v[64:65], v[100:101]
	v_add_f64 v[4:5], v[34:35], v[4:5]
	v_add_f64 v[34:35], v[254:255], v[40:41]
	v_mul_f64 v[168:169], v[126:127], s[18:19]
	v_mul_f64 v[172:173], v[126:127], s[28:29]
	v_add_f64 v[200:201], v[200:201], v[204:205]
	v_add_f64 v[192:193], v[192:193], v[194:195]
	v_mul_f64 v[126:127], v[126:127], s[16:17]
	v_fma_f64 v[196:197], s[30:31], v[94:95], v[108:109]
	v_add_f64 v[198:199], v[254:255], v[198:199]
	v_mul_f64 v[74:75], v[74:75], s[20:21]
	v_add_f64 v[34:35], v[34:35], v[42:43]
	v_add_f64 v[142:143], v[142:143], v[200:201]
	;; [unrolled: 1-line block ×3, first 2 shown]
	v_mul_f64 v[192:193], v[132:133], s[0:1]
	v_fma_f64 v[194:195], s[22:23], v[104:105], v[126:127]
	v_add_f64 v[196:197], v[196:197], v[198:199]
	v_mul_f64 v[198:199], v[102:103], s[34:35]
	v_fma_f64 v[200:201], s[18:19], v[58:59], v[74:75]
	v_fmac_f64_e32 v[100:101], s[20:21], v[64:65]
	v_add_f64 v[34:35], v[34:35], v[44:45]
	v_mul_f64 v[154:155], v[58:59], s[16:17]
	v_mul_f64 v[176:177], v[132:133], s[24:25]
	v_accvgpr_write_b32 a0, v180
	v_accvgpr_write_b32 a1, v181
	v_mul_f64 v[180:181], v[132:133], s[18:19]
	v_accvgpr_write_b32 a2, v182
	v_accvgpr_write_b32 a6, v186
	v_fma_f64 v[132:133], s[38:39], v[112:113], v[192:193]
	v_add_f64 v[194:195], v[194:195], v[196:197]
	v_mul_f64 v[118:119], v[118:119], s[40:41]
	v_fma_f64 v[102:103], s[28:29], v[70:71], v[198:199]
	v_add_f64 v[200:201], v[252:253], v[200:201]
	v_fmac_f64_e32 v[108:109], s[34:35], v[94:95]
	v_add_f64 v[64:65], v[254:255], v[100:101]
	v_fma_f64 v[58:59], v[58:59], s[18:19], -v[74:75]
	v_add_f64 v[34:35], v[34:35], v[46:47]
	v_mul_f64 v[162:163], v[70:71], s[24:25]
	v_accvgpr_write_b32 a3, v183
	v_accvgpr_write_b32 a4, v184
	v_accvgpr_write_b32 a5, v185
	v_mul_f64 v[184:185], v[136:137], s[28:29]
	v_accvgpr_write_b32 a7, v187
	v_accvgpr_write_b32 a8, v188
	;; [unrolled: 1-line block ×3, first 2 shown]
	v_mul_f64 v[188:189], v[136:137], s[0:1]
	v_mul_f64 v[136:137], v[136:137], s[24:25]
	v_add_f64 v[132:133], v[132:133], v[194:195]
	v_mul_f64 v[194:195], v[130:131], s[6:7]
	v_fma_f64 v[196:197], s[16:17], v[96:97], v[118:119]
	v_add_f64 v[102:103], v[102:103], v[200:201]
	v_fmac_f64_e32 v[126:127], s[40:41], v[104:105]
	v_add_f64 v[64:65], v[108:109], v[64:65]
	v_fma_f64 v[70:71], v[70:71], s[28:29], -v[198:199]
	v_add_f64 v[58:59], v[252:253], v[58:59]
	v_add_f64 v[34:35], v[34:35], v[48:49]
	v_mul_f64 v[166:167], v[96:97], s[18:19]
	v_mul_f64 v[170:171], v[96:97], s[28:29]
	v_add_f64 v[146:147], v[146:147], v[190:191]
	v_fma_f64 v[190:191], s[44:45], v[128:129], v[136:137]
	v_mul_f64 v[134:135], v[134:135], s[26:27]
	v_fma_f64 v[130:131], s[0:1], v[106:107], v[194:195]
	v_add_f64 v[102:103], v[196:197], v[102:103]
	v_fmac_f64_e32 v[192:193], s[6:7], v[112:113]
	v_add_f64 v[64:65], v[126:127], v[64:65]
	v_fma_f64 v[96:97], v[96:97], s[16:17], -v[118:119]
	v_add_f64 v[58:59], v[70:71], v[58:59]
	v_add_f64 v[54:55], v[54:55], v[156:157]
	;; [unrolled: 1-line block ×4, first 2 shown]
	v_fma_f64 v[190:191], s[24:25], v[116:117], v[134:135]
	v_add_f64 v[102:103], v[130:131], v[102:103]
	v_fmac_f64_e32 v[136:137], s[26:27], v[128:129]
	v_add_f64 v[64:65], v[192:193], v[64:65]
	v_fma_f64 v[94:95], v[106:107], s[0:1], -v[194:195]
	v_add_f64 v[58:59], v[96:97], v[58:59]
	v_add_f64 v[68:69], v[68:69], v[164:165]
	;; [unrolled: 1-line block ×7, first 2 shown]
	v_fma_f64 v[64:65], v[116:117], s[24:25], -v[134:135]
	v_add_f64 v[58:59], v[94:95], v[58:59]
	v_add_f64 v[70:71], v[122:123], v[172:173]
	;; [unrolled: 1-line block ×3, first 2 shown]
	v_add_f64 v[50:51], v[154:155], -v[50:51]
	v_add_f64 v[22:23], v[22:23], v[38:39]
	v_add_f64 v[100:101], v[64:65], v[58:59]
	;; [unrolled: 1-line block ×4, first 2 shown]
	v_add_f64 v[60:61], v[162:163], -v[60:61]
	v_add_f64 v[50:51], v[252:253], v[50:51]
	v_add_f64 v[8:9], v[22:23], v[8:9]
	v_mul_f64 v[178:179], v[106:107], s[18:19]
	v_add_f64 v[58:59], v[76:77], v[188:189]
	v_add_f64 v[54:55], v[64:65], v[54:55]
	v_add_f64 v[64:65], v[170:171], -v[110:111]
	v_add_f64 v[50:51], v[60:61], v[50:51]
	v_add_f64 v[6:7], v[6:7], v[152:153]
	v_add_f64 v[8:9], v[8:9], v[10:11]
	v_mul_f64 v[186:187], v[116:117], s[0:1]
	v_add_f64 v[70:71], v[58:59], v[54:55]
	v_add_f64 v[58:59], v[178:179], -v[114:115]
	v_add_f64 v[50:51], v[64:65], v[50:51]
	v_add_f64 v[52:53], v[52:53], v[160:161]
	;; [unrolled: 1-line block ×4, first 2 shown]
	v_add_f64 v[54:55], v[186:187], -v[120:121]
	v_add_f64 v[50:51], v[58:59], v[50:51]
	v_add_f64 v[58:59], v[62:63], v[168:169]
	;; [unrolled: 1-line block ×8, first 2 shown]
	v_mul_f64 v[174:175], v[106:107], s[24:25]
	v_mul_f64 v[182:183], v[116:117], s[28:29]
	v_add_f64 v[50:51], v[98:99], v[184:185]
	v_add_f64 v[6:7], v[54:55], v[6:7]
	v_add_f64 v[54:55], v[166:167], -v[56:57]
	v_add_f64 v[20:21], v[20:21], v[24:25]
	v_add_f64 v[8:9], v[8:9], v[18:19]
	v_accvgpr_read_b32 v205, a25
	v_accvgpr_read_b32 v193, a13
	v_accvgpr_read_b32 v197, a17
	v_accvgpr_read_b32 v201, a21
	v_accvgpr_read_b32 v189, a9
	v_add_f64 v[6:7], v[50:51], v[6:7]
	v_add_f64 v[50:51], v[182:183], -v[92:93]
	v_accvgpr_read_b32 v185, a5
	v_add_f64 v[52:53], v[174:175], -v[66:67]
	v_add_f64 v[4:5], v[54:55], v[4:5]
	v_add_f64 v[20:21], v[20:21], v[32:33]
	;; [unrolled: 1-line block ×3, first 2 shown]
	v_accvgpr_read_b32 v213, a85
	v_accvgpr_read_b32 v212, a84
	;; [unrolled: 1-line block ×24, first 2 shown]
	v_add_f64 v[4:5], v[52:53], v[4:5]
	v_add_f64 v[20:21], v[20:21], v[30:31]
	;; [unrolled: 1-line block ×4, first 2 shown]
	ds_write_b128 v78, v[18:21] offset:704
	ds_write_b128 v78, v[4:7] offset:2048
	;; [unrolled: 1-line block ×11, first 2 shown]
.LBB0_15:
	s_or_b64 exec, exec, s[42:43]
	v_lshlrev_b32_e32 v0, 4, v180
	v_mov_b32_e32 v1, 0
	v_lshl_add_u64 v[2:3], s[14:15], 0, v[0:1]
	s_movk_i32 s6, 0x3000
	v_add_co_u32_e32 v0, vcc, s6, v2
	s_waitcnt lgkmcnt(0)
	s_nop 0
	v_addc_co_u32_e32 v1, vcc, 0, v3, vcc
	; wave barrier
	global_load_dwordx4 v[10:13], v[0:1], off offset:2496
	ds_read_b128 v[4:7], v78
	s_mov_b64 s[0:1], 0x39c0
	v_lshl_add_u64 v[8:9], v[2:3], 0, s[0:1]
	s_movk_i32 s0, 0x5000
	s_waitcnt vmcnt(0) lgkmcnt(0)
	v_mul_f64 v[0:1], v[6:7], v[12:13]
	v_fma_f64 v[14:15], v[4:5], v[10:11], -v[0:1]
	v_add_co_u32_e32 v0, vcc, s0, v2
	v_mul_f64 v[16:17], v[4:5], v[12:13]
	s_nop 0
	v_addc_co_u32_e32 v1, vcc, 0, v3, vcc
	v_fmac_f64_e32 v[16:17], v[6:7], v[10:11]
	global_load_dwordx4 v[10:13], v[0:1], off offset:1696
	ds_read_b128 v[4:7], v78 offset:7392
	ds_write_b128 v78, v[14:17]
	s_movk_i32 s0, 0x6000
	s_waitcnt vmcnt(0) lgkmcnt(1)
	v_mul_f64 v[14:15], v[6:7], v[12:13]
	v_mul_f64 v[16:17], v[4:5], v[12:13]
	v_fma_f64 v[14:15], v[4:5], v[10:11], -v[14:15]
	v_fmac_f64_e32 v[16:17], v[6:7], v[10:11]
	global_load_dwordx4 v[10:13], v[8:9], off offset:704
	ds_read_b128 v[4:7], v78 offset:704
	ds_write_b128 v78, v[14:17] offset:7392
	s_waitcnt vmcnt(0) lgkmcnt(1)
	v_mul_f64 v[14:15], v[6:7], v[12:13]
	v_mul_f64 v[16:17], v[4:5], v[12:13]
	v_fma_f64 v[14:15], v[4:5], v[10:11], -v[14:15]
	v_fmac_f64_e32 v[16:17], v[6:7], v[10:11]
	global_load_dwordx4 v[10:13], v[0:1], off offset:2400
	ds_read_b128 v[4:7], v78 offset:8096
	ds_write_b128 v78, v[14:17] offset:704
	;; [unrolled: 8-line block ×7, first 2 shown]
	s_waitcnt vmcnt(0) lgkmcnt(1)
	v_mul_f64 v[14:15], v[6:7], v[12:13]
	v_fma_f64 v[14:15], v[4:5], v[10:11], -v[14:15]
	v_mul_f64 v[16:17], v[4:5], v[12:13]
	v_add_co_u32_e32 v4, vcc, s0, v2
	v_fmac_f64_e32 v[16:17], v[6:7], v[10:11]
	s_nop 0
	v_addc_co_u32_e32 v5, vcc, 0, v3, vcc
	ds_write_b128 v78, v[14:17] offset:2816
	global_load_dwordx4 v[14:17], v[4:5], off offset:416
	ds_read_b128 v[10:13], v78 offset:10208
	s_movk_i32 s0, 0x4000
	v_add_co_u32_e32 v2, vcc, s0, v2
	s_waitcnt vmcnt(0) lgkmcnt(0)
	v_mul_f64 v[6:7], v[12:13], v[16:17]
	v_mul_f64 v[20:21], v[10:11], v[16:17]
	v_fma_f64 v[18:19], v[10:11], v[14:15], -v[6:7]
	v_fmac_f64_e32 v[20:21], v[12:13], v[14:15]
	global_load_dwordx4 v[14:17], v[8:9], off offset:3520
	ds_read_b128 v[10:13], v78 offset:3520
	ds_write_b128 v78, v[18:21] offset:10208
	v_addc_co_u32_e32 v3, vcc, 0, v3, vcc
	s_waitcnt vmcnt(0) lgkmcnt(1)
	v_mul_f64 v[6:7], v[12:13], v[16:17]
	v_mul_f64 v[20:21], v[10:11], v[16:17]
	v_fma_f64 v[18:19], v[10:11], v[14:15], -v[6:7]
	v_fmac_f64_e32 v[20:21], v[12:13], v[14:15]
	global_load_dwordx4 v[14:17], v[4:5], off offset:1120
	ds_read_b128 v[10:13], v78 offset:10912
	ds_write_b128 v78, v[18:21] offset:3520
	s_waitcnt vmcnt(0) lgkmcnt(1)
	v_mul_f64 v[6:7], v[12:13], v[16:17]
	v_mul_f64 v[20:21], v[10:11], v[16:17]
	v_fma_f64 v[18:19], v[10:11], v[14:15], -v[6:7]
	v_fmac_f64_e32 v[20:21], v[12:13], v[14:15]
	global_load_dwordx4 v[14:17], v[2:3], off offset:2624
	ds_read_b128 v[10:13], v78 offset:4224
	ds_write_b128 v78, v[18:21] offset:10912
	;; [unrolled: 8-line block ×7, first 2 shown]
	s_waitcnt vmcnt(0) lgkmcnt(1)
	v_mul_f64 v[2:3], v[12:13], v[16:17]
	v_fma_f64 v[18:19], v[10:11], v[14:15], -v[2:3]
	global_load_dwordx4 v[0:3], v[0:1], off offset:640
	v_mul_f64 v[20:21], v[10:11], v[16:17]
	v_fmac_f64_e32 v[20:21], v[12:13], v[14:15]
	ds_read_b128 v[10:13], v78 offset:6336
	ds_write_b128 v78, v[18:21] offset:13024
	s_waitcnt vmcnt(0) lgkmcnt(1)
	v_mul_f64 v[6:7], v[12:13], v[2:3]
	v_fma_f64 v[14:15], v[10:11], v[0:1], -v[6:7]
	global_load_dwordx4 v[4:7], v[4:5], off offset:3936
	v_mul_f64 v[16:17], v[10:11], v[2:3]
	v_fmac_f64_e32 v[16:17], v[12:13], v[0:1]
	ds_read_b128 v[0:3], v78 offset:13728
	ds_write_b128 v78, v[14:17] offset:6336
	s_waitcnt vmcnt(0) lgkmcnt(1)
	v_mul_f64 v[10:11], v[2:3], v[6:7]
	v_mul_f64 v[12:13], v[0:1], v[6:7]
	v_fma_f64 v[10:11], v[0:1], v[4:5], -v[10:11]
	v_fmac_f64_e32 v[12:13], v[2:3], v[4:5]
	ds_write_b128 v78, v[10:13] offset:13728
	s_and_saveexec_b64 s[0:1], s[4:5]
	s_cbranch_execz .LBB0_17
; %bb.16:
	v_add_co_u32_e32 v4, vcc, 0x1000, v8
	ds_read_b128 v[0:3], v78 offset:7040
	s_nop 0
	v_addc_co_u32_e32 v5, vcc, 0, v9, vcc
	global_load_dwordx4 v[4:7], v[4:5], off offset:2944
	s_waitcnt vmcnt(0) lgkmcnt(0)
	v_mul_f64 v[10:11], v[2:3], v[6:7]
	v_mul_f64 v[12:13], v[0:1], v[6:7]
	v_fma_f64 v[10:11], v[0:1], v[4:5], -v[10:11]
	v_fmac_f64_e32 v[12:13], v[2:3], v[4:5]
	v_add_co_u32_e32 v4, vcc, s6, v8
	ds_read_b128 v[0:3], v78 offset:14432
	s_nop 0
	v_addc_co_u32_e32 v5, vcc, 0, v9, vcc
	global_load_dwordx4 v[4:7], v[4:5], off offset:2144
	ds_write_b128 v78, v[10:13] offset:7040
	s_waitcnt vmcnt(0) lgkmcnt(1)
	v_mul_f64 v[8:9], v[2:3], v[6:7]
	v_mul_f64 v[10:11], v[0:1], v[6:7]
	v_fma_f64 v[8:9], v[0:1], v[4:5], -v[8:9]
	v_fmac_f64_e32 v[10:11], v[2:3], v[4:5]
	ds_write_b128 v78, v[8:11] offset:14432
.LBB0_17:
	s_or_b64 exec, exec, s[0:1]
	s_waitcnt lgkmcnt(0)
	; wave barrier
	s_waitcnt lgkmcnt(0)
	ds_read_b128 v[72:75], v78
	ds_read_b128 v[60:63], v78 offset:704
	ds_read_b128 v[252:255], v78 offset:7392
	;; [unrolled: 1-line block ×19, first 2 shown]
	s_and_saveexec_b64 s[0:1], s[4:5]
	s_cbranch_execz .LBB0_19
; %bb.18:
	ds_read_b128 v[248:251], v78 offset:7040
	ds_read_b128 v[244:247], v78 offset:14432
.LBB0_19:
	s_or_b64 exec, exec, s[0:1]
	s_waitcnt lgkmcnt(14)
	v_add_f64 v[92:93], v[72:73], -v[252:253]
	v_add_f64 v[94:95], v[74:75], -v[254:255]
	s_waitcnt lgkmcnt(13)
	v_add_f64 v[64:65], v[56:57], -v[64:65]
	v_fma_f64 v[72:73], v[72:73], 2.0, -v[92:93]
	v_fma_f64 v[74:75], v[74:75], 2.0, -v[94:95]
	v_add_f64 v[68:69], v[60:61], -v[68:69]
	v_add_f64 v[70:71], v[62:63], -v[70:71]
	;; [unrolled: 1-line block ×3, first 2 shown]
	v_fma_f64 v[56:57], v[56:57], 2.0, -v[64:65]
	s_waitcnt lgkmcnt(12)
	v_add_f64 v[52:53], v[44:45], -v[52:53]
	v_add_f64 v[54:55], v[46:47], -v[54:55]
	v_fma_f64 v[60:61], v[60:61], 2.0, -v[68:69]
	v_fma_f64 v[62:63], v[62:63], 2.0, -v[70:71]
	;; [unrolled: 1-line block ×5, first 2 shown]
	s_waitcnt lgkmcnt(9)
	v_add_f64 v[48:49], v[40:41], -v[48:49]
	v_add_f64 v[50:51], v[42:43], -v[50:51]
	s_waitcnt lgkmcnt(0)
	; wave barrier
	s_waitcnt lgkmcnt(0)
	ds_write_b128 v207, v[72:75]
	ds_write_b128 v207, v[92:95] offset:16
	ds_write_b128 v212, v[60:63]
	ds_write_b128 v212, v[68:71] offset:16
	;; [unrolled: 2-line block ×3, first 2 shown]
	v_accvgpr_read_b32 v56, a86
	v_fma_f64 v[40:41], v[40:41], 2.0, -v[48:49]
	v_fma_f64 v[42:43], v[42:43], 2.0, -v[50:51]
	v_add_f64 v[36:37], v[28:29], -v[36:37]
	v_add_f64 v[38:39], v[30:31], -v[38:39]
	ds_write_b128 v56, v[44:47]
	ds_write_b128 v56, v[52:55] offset:16
	v_accvgpr_read_b32 v44, a88
	v_fma_f64 v[28:29], v[28:29], 2.0, -v[36:37]
	v_fma_f64 v[30:31], v[30:31], 2.0, -v[38:39]
	v_add_f64 v[32:33], v[24:25], -v[32:33]
	v_add_f64 v[34:35], v[26:27], -v[34:35]
	ds_write_b128 v44, v[40:43]
	ds_write_b128 v44, v[48:51] offset:16
	;; [unrolled: 7-line block ×4, first 2 shown]
	v_accvgpr_read_b32 v24, a91
	v_fma_f64 v[8:9], v[8:9], 2.0, -v[16:17]
	v_fma_f64 v[10:11], v[10:11], 2.0, -v[18:19]
	v_add_f64 v[96:97], v[0:1], -v[4:5]
	v_add_f64 v[98:99], v[2:3], -v[6:7]
	;; [unrolled: 1-line block ×4, first 2 shown]
	ds_write_b128 v24, v[12:15]
	ds_write_b128 v24, v[20:23] offset:16
	v_accvgpr_read_b32 v12, a92
	v_fma_f64 v[100:101], v[0:1], 2.0, -v[96:97]
	v_fma_f64 v[102:103], v[2:3], 2.0, -v[98:99]
	;; [unrolled: 1-line block ×4, first 2 shown]
	ds_write_b128 v12, v[8:11]
	ds_write_b128 v12, v[16:19] offset:16
	v_accvgpr_read_b32 v8, a93
	ds_write_b128 v8, v[100:103]
	ds_write_b128 v8, v[96:99] offset:16
	s_and_saveexec_b64 s[0:1], s[4:5]
	s_cbranch_execz .LBB0_21
; %bb.20:
	v_accvgpr_read_b32 v8, a87
	ds_write_b128 v8, v[0:3]
	ds_write_b128 v8, v[4:7] offset:16
.LBB0_21:
	s_or_b64 exec, exec, s[0:1]
	s_waitcnt lgkmcnt(0)
	; wave barrier
	s_waitcnt lgkmcnt(0)
	ds_read_b128 v[44:47], v78
	ds_read_b128 v[40:43], v78 offset:704
	ds_read_b128 v[252:255], v78 offset:7392
	;; [unrolled: 1-line block ×19, first 2 shown]
	s_and_saveexec_b64 s[0:1], s[4:5]
	s_cbranch_execz .LBB0_23
; %bb.22:
	ds_read_b128 v[0:3], v78 offset:7040
	ds_read_b128 v[4:7], v78 offset:14432
.LBB0_23:
	s_or_b64 exec, exec, s[0:1]
	s_waitcnt lgkmcnt(12)
	v_mul_f64 v[102:103], v[82:83], v[74:75]
	v_fmac_f64_e32 v[102:103], v[80:81], v[72:73]
	v_mul_f64 v[72:73], v[82:83], v[72:73]
	v_fma_f64 v[72:73], v[80:81], v[74:75], -v[72:73]
	s_waitcnt lgkmcnt(9)
	v_mul_f64 v[74:75], v[82:83], v[70:71]
	v_mul_f64 v[76:77], v[82:83], v[254:255]
	v_mul_f64 v[92:93], v[82:83], v[252:253]
	v_fmac_f64_e32 v[74:75], v[80:81], v[68:69]
	v_mul_f64 v[68:69], v[82:83], v[68:69]
	s_waitcnt lgkmcnt(0)
	v_mul_f64 v[120:121], v[82:83], v[6:7]
	v_fmac_f64_e32 v[76:77], v[80:81], v[252:253]
	v_fma_f64 v[92:93], v[80:81], v[254:255], -v[92:93]
	v_mul_f64 v[94:95], v[82:83], v[250:251]
	v_mul_f64 v[96:97], v[82:83], v[248:249]
	v_fma_f64 v[68:69], v[80:81], v[70:71], -v[68:69]
	v_mul_f64 v[70:71], v[82:83], v[66:67]
	v_mul_f64 v[104:105], v[82:83], v[62:63]
	;; [unrolled: 1-line block ×5, first 2 shown]
	v_fmac_f64_e32 v[120:121], v[80:81], v[4:5]
	v_mul_f64 v[4:5], v[82:83], v[4:5]
	v_fmac_f64_e32 v[94:95], v[80:81], v[248:249]
	v_fma_f64 v[96:97], v[80:81], v[250:251], -v[96:97]
	v_mul_f64 v[98:99], v[82:83], v[246:247]
	v_mul_f64 v[100:101], v[82:83], v[244:245]
	v_fmac_f64_e32 v[70:71], v[80:81], v[64:65]
	v_mul_f64 v[64:65], v[82:83], v[64:65]
	v_fmac_f64_e32 v[104:105], v[80:81], v[60:61]
	;; [unrolled: 2-line block ×5, first 2 shown]
	v_mul_f64 v[48:49], v[82:83], v[48:49]
	v_fma_f64 v[82:83], v[80:81], v[6:7], -v[4:5]
	v_add_f64 v[4:5], v[44:45], -v[76:77]
	v_add_f64 v[6:7], v[46:47], -v[92:93]
	v_fmac_f64_e32 v[98:99], v[80:81], v[244:245]
	v_fma_f64 v[100:101], v[80:81], v[246:247], -v[100:101]
	v_fma_f64 v[118:119], v[80:81], v[50:51], -v[48:49]
	v_fma_f64 v[44:45], v[44:45], 2.0, -v[4:5]
	v_fma_f64 v[46:47], v[46:47], 2.0, -v[6:7]
	v_add_f64 v[48:49], v[40:41], -v[94:95]
	v_add_f64 v[50:51], v[42:43], -v[96:97]
	v_accvgpr_read_b32 v76, a106
	v_fma_f64 v[114:115], v[80:81], v[54:55], -v[52:53]
	v_fma_f64 v[40:41], v[40:41], 2.0, -v[48:49]
	v_fma_f64 v[42:43], v[42:43], 2.0, -v[50:51]
	v_add_f64 v[52:53], v[36:37], -v[98:99]
	v_add_f64 v[54:55], v[38:39], -v[100:101]
	s_waitcnt lgkmcnt(0)
	; wave barrier
	ds_write_b128 v76, v[44:47]
	ds_write_b128 v76, v[4:7] offset:32
	v_accvgpr_read_b32 v4, a107
	v_fma_f64 v[110:111], v[80:81], v[58:59], -v[56:57]
	v_fma_f64 v[36:37], v[36:37], 2.0, -v[52:53]
	v_fma_f64 v[38:39], v[38:39], 2.0, -v[54:55]
	v_add_f64 v[56:57], v[32:33], -v[102:103]
	v_add_f64 v[58:59], v[34:35], -v[72:73]
	ds_write_b128 v4, v[40:43]
	ds_write_b128 v4, v[48:51] offset:32
	v_accvgpr_read_b32 v4, a108
	v_fma_f64 v[66:67], v[80:81], v[66:67], -v[64:65]
	v_fma_f64 v[106:107], v[80:81], v[62:63], -v[60:61]
	v_fma_f64 v[32:33], v[32:33], 2.0, -v[56:57]
	v_fma_f64 v[34:35], v[34:35], 2.0, -v[58:59]
	v_add_f64 v[60:61], v[28:29], -v[74:75]
	v_add_f64 v[62:63], v[30:31], -v[68:69]
	ds_write_b128 v4, v[36:39]
	ds_write_b128 v4, v[52:55] offset:32
	v_accvgpr_read_b32 v4, a109
	v_fma_f64 v[28:29], v[28:29], 2.0, -v[60:61]
	v_fma_f64 v[30:31], v[30:31], 2.0, -v[62:63]
	v_add_f64 v[64:65], v[24:25], -v[70:71]
	v_add_f64 v[66:67], v[26:27], -v[66:67]
	ds_write_b128 v4, v[32:35]
	ds_write_b128 v4, v[56:59] offset:32
	v_accvgpr_read_b32 v4, a110
	;; [unrolled: 7-line block ×7, first 2 shown]
	ds_write_b128 v4, v[8:11]
	ds_write_b128 v4, v[96:99] offset:32
	s_and_saveexec_b64 s[0:1], s[4:5]
	s_cbranch_execz .LBB0_25
; %bb.24:
	s_movk_i32 s6, 0x3fc
	v_accvgpr_read_b32 v4, a116
	v_and_or_b32 v4, v4, s6, v181
	v_fma_f64 v[2:3], v[2:3], 2.0, -v[82:83]
	v_fma_f64 v[0:1], v[0:1], 2.0, -v[80:81]
	v_lshlrev_b32_e32 v4, 4, v4
	ds_write_b128 v4, v[0:3]
	ds_write_b128 v4, v[80:83] offset:32
.LBB0_25:
	s_or_b64 exec, exec, s[0:1]
	s_waitcnt lgkmcnt(0)
	; wave barrier
	s_waitcnt lgkmcnt(0)
	ds_read_b128 v[0:3], v78
	ds_read_b128 v[4:7], v78 offset:704
	ds_read_b128 v[28:31], v78 offset:9856
	;; [unrolled: 1-line block ×20, first 2 shown]
	s_waitcnt lgkmcnt(4)
	v_mul_f64 v[76:77], v[90:91], v[70:71]
	v_fmac_f64_e32 v[76:77], v[88:89], v[68:69]
	v_mul_f64 v[68:69], v[90:91], v[68:69]
	v_fma_f64 v[68:69], v[88:89], v[70:71], -v[68:69]
	v_mul_f64 v[70:71], v[86:87], v[30:31]
	v_fmac_f64_e32 v[70:71], v[84:85], v[28:29]
	v_mul_f64 v[28:29], v[86:87], v[28:29]
	v_fma_f64 v[100:101], v[84:85], v[30:31], -v[28:29]
	v_mul_f64 v[28:29], v[90:91], v[36:37]
	v_fma_f64 v[104:105], v[88:89], v[38:39], -v[28:29]
	;; [unrolled: 2-line block ×9, first 2 shown]
	s_waitcnt lgkmcnt(2)
	v_mul_f64 v[28:29], v[90:91], v[72:73]
	v_mul_f64 v[134:135], v[90:91], v[74:75]
	v_fma_f64 v[74:75], v[88:89], v[74:75], -v[28:29]
	v_mul_f64 v[28:29], v[86:87], v[64:65]
	v_fma_f64 v[138:139], v[84:85], v[66:67], -v[28:29]
	s_waitcnt lgkmcnt(1)
	v_mul_f64 v[28:29], v[90:91], v[92:93]
	v_mul_f64 v[102:103], v[90:91], v[38:39]
	;; [unrolled: 1-line block ×7, first 2 shown]
	v_fma_f64 v[90:91], v[88:89], v[94:95], -v[28:29]
	s_waitcnt lgkmcnt(0)
	v_mul_f64 v[28:29], v[86:87], v[96:97]
	v_add_f64 v[30:31], v[76:77], v[70:71]
	s_mov_b32 s0, 0xe8584caa
	v_fmac_f64_e32 v[102:103], v[88:89], v[36:37]
	v_fmac_f64_e32 v[106:107], v[84:85], v[32:33]
	v_fma_f64 v[94:95], v[84:85], v[98:99], -v[28:29]
	v_add_f64 v[28:29], v[0:1], v[76:77]
	v_fmac_f64_e32 v[0:1], -0.5, v[30:31]
	v_add_f64 v[30:31], v[68:69], -v[100:101]
	s_mov_b32 s1, 0xbfebb67a
	s_mov_b32 s7, 0x3febb67a
	;; [unrolled: 1-line block ×3, first 2 shown]
	v_add_f64 v[34:35], v[68:69], v[100:101]
	v_mul_f64 v[114:115], v[86:87], v[46:47]
	v_fma_f64 v[32:33], s[0:1], v[30:31], v[0:1]
	v_fmac_f64_e32 v[0:1], s[6:7], v[30:31]
	v_add_f64 v[30:31], v[2:3], v[68:69]
	v_fmac_f64_e32 v[2:3], -0.5, v[34:35]
	v_add_f64 v[36:37], v[76:77], -v[70:71]
	v_add_f64 v[38:39], v[102:103], v[106:107]
	v_fmac_f64_e32 v[110:111], v[88:89], v[40:41]
	v_fmac_f64_e32 v[114:115], v[84:85], v[44:45]
	v_fma_f64 v[34:35], s[6:7], v[36:37], v[2:3]
	v_fmac_f64_e32 v[2:3], s[0:1], v[36:37]
	v_add_f64 v[36:37], v[4:5], v[102:103]
	v_fmac_f64_e32 v[4:5], -0.5, v[38:39]
	v_add_f64 v[38:39], v[104:105], -v[108:109]
	v_add_f64 v[42:43], v[104:105], v[108:109]
	v_mul_f64 v[122:123], v[86:87], v[50:51]
	v_fma_f64 v[40:41], s[0:1], v[38:39], v[4:5]
	v_fmac_f64_e32 v[4:5], s[6:7], v[38:39]
	v_add_f64 v[38:39], v[6:7], v[104:105]
	v_fmac_f64_e32 v[6:7], -0.5, v[42:43]
	v_add_f64 v[44:45], v[102:103], -v[106:107]
	v_add_f64 v[46:47], v[110:111], v[114:115]
	v_fmac_f64_e32 v[118:119], v[88:89], v[52:53]
	v_fmac_f64_e32 v[122:123], v[84:85], v[48:49]
	v_fma_f64 v[42:43], s[6:7], v[44:45], v[6:7]
	v_fmac_f64_e32 v[6:7], s[0:1], v[44:45]
	v_add_f64 v[44:45], v[8:9], v[110:111]
	v_fmac_f64_e32 v[8:9], -0.5, v[46:47]
	v_add_f64 v[46:47], v[112:113], -v[116:117]
	v_add_f64 v[50:51], v[112:113], v[116:117]
	v_mul_f64 v[130:131], v[86:87], v[62:63]
	v_fma_f64 v[48:49], s[0:1], v[46:47], v[8:9]
	v_fmac_f64_e32 v[8:9], s[6:7], v[46:47]
	v_add_f64 v[46:47], v[10:11], v[112:113]
	v_fmac_f64_e32 v[10:11], -0.5, v[50:51]
	v_add_f64 v[52:53], v[110:111], -v[114:115]
	v_add_f64 v[54:55], v[118:119], v[122:123]
	v_fmac_f64_e32 v[126:127], v[88:89], v[56:57]
	v_fmac_f64_e32 v[130:131], v[84:85], v[60:61]
	v_fma_f64 v[50:51], s[6:7], v[52:53], v[10:11]
	v_fmac_f64_e32 v[10:11], s[0:1], v[52:53]
	v_add_f64 v[52:53], v[12:13], v[118:119]
	v_fmac_f64_e32 v[12:13], -0.5, v[54:55]
	v_add_f64 v[54:55], v[120:121], -v[124:125]
	v_add_f64 v[58:59], v[120:121], v[124:125]
	v_mul_f64 v[136:137], v[86:87], v[66:67]
	v_fma_f64 v[56:57], s[0:1], v[54:55], v[12:13]
	v_fmac_f64_e32 v[12:13], s[6:7], v[54:55]
	v_add_f64 v[54:55], v[14:15], v[120:121]
	v_fmac_f64_e32 v[14:15], -0.5, v[58:59]
	v_add_f64 v[60:61], v[118:119], -v[122:123]
	v_add_f64 v[62:63], v[126:127], v[130:131]
	v_fmac_f64_e32 v[134:135], v[88:89], v[72:73]
	v_fmac_f64_e32 v[136:137], v[84:85], v[64:65]
	v_fma_f64 v[58:59], s[6:7], v[60:61], v[14:15]
	v_fmac_f64_e32 v[14:15], s[0:1], v[60:61]
	v_add_f64 v[60:61], v[16:17], v[126:127]
	v_fmac_f64_e32 v[16:17], -0.5, v[62:63]
	v_add_f64 v[62:63], v[128:129], -v[132:133]
	v_add_f64 v[66:67], v[128:129], v[132:133]
	v_add_f64 v[28:29], v[28:29], v[70:71]
	v_fma_f64 v[64:65], s[0:1], v[62:63], v[16:17]
	v_fmac_f64_e32 v[16:17], s[6:7], v[62:63]
	v_add_f64 v[62:63], v[18:19], v[128:129]
	v_fmac_f64_e32 v[18:19], -0.5, v[66:67]
	v_add_f64 v[68:69], v[126:127], -v[130:131]
	v_add_f64 v[70:71], v[134:135], v[136:137]
	v_fma_f64 v[66:67], s[6:7], v[68:69], v[18:19]
	v_fmac_f64_e32 v[18:19], s[0:1], v[68:69]
	v_add_f64 v[68:69], v[20:21], v[134:135]
	v_fmac_f64_e32 v[20:21], -0.5, v[70:71]
	v_add_f64 v[70:71], v[74:75], -v[138:139]
	v_fma_f64 v[72:73], s[0:1], v[70:71], v[20:21]
	v_fmac_f64_e32 v[20:21], s[6:7], v[70:71]
	v_add_f64 v[70:71], v[22:23], v[74:75]
	v_add_f64 v[74:75], v[74:75], v[138:139]
	v_fmac_f64_e32 v[140:141], v[88:89], v[92:93]
	v_mul_f64 v[92:93], v[86:87], v[98:99]
	v_fmac_f64_e32 v[22:23], -0.5, v[74:75]
	v_add_f64 v[76:77], v[134:135], -v[136:137]
	v_fmac_f64_e32 v[92:93], v[84:85], v[96:97]
	v_fma_f64 v[74:75], s[6:7], v[76:77], v[22:23]
	v_fmac_f64_e32 v[22:23], s[0:1], v[76:77]
	v_add_f64 v[76:77], v[24:25], v[140:141]
	v_add_f64 v[84:85], v[76:77], v[92:93]
	;; [unrolled: 1-line block ×3, first 2 shown]
	v_fmac_f64_e32 v[24:25], -0.5, v[76:77]
	v_add_f64 v[76:77], v[90:91], -v[94:95]
	v_fma_f64 v[88:89], s[0:1], v[76:77], v[24:25]
	v_fmac_f64_e32 v[24:25], s[6:7], v[76:77]
	v_add_f64 v[76:77], v[26:27], v[90:91]
	v_add_f64 v[86:87], v[76:77], v[94:95]
	v_add_f64 v[76:77], v[90:91], v[94:95]
	v_fmac_f64_e32 v[26:27], -0.5, v[76:77]
	v_add_f64 v[76:77], v[140:141], -v[92:93]
	v_add_f64 v[30:31], v[30:31], v[100:101]
	v_fma_f64 v[90:91], s[6:7], v[76:77], v[26:27]
	v_fmac_f64_e32 v[26:27], s[0:1], v[76:77]
	v_accvgpr_read_b32 v76, a121
	v_add_f64 v[36:37], v[36:37], v[106:107]
	v_add_f64 v[38:39], v[38:39], v[108:109]
	s_waitcnt lgkmcnt(0)
	; wave barrier
	ds_write_b128 v76, v[28:31]
	ds_write_b128 v76, v[32:35] offset:64
	ds_write_b128 v76, v[0:3] offset:128
	v_accvgpr_read_b32 v0, a142
	v_add_f64 v[44:45], v[44:45], v[114:115]
	v_add_f64 v[46:47], v[46:47], v[116:117]
	ds_write_b128 v0, v[36:39]
	ds_write_b128 v0, v[40:43] offset:64
	ds_write_b128 v0, v[4:7] offset:128
	v_accvgpr_read_b32 v0, a143
	v_add_f64 v[52:53], v[52:53], v[122:123]
	v_add_f64 v[54:55], v[54:55], v[124:125]
	;; [unrolled: 6-line block ×4, first 2 shown]
	ds_write_b128 v0, v[60:63]
	ds_write_b128 v0, v[64:67] offset:64
	ds_write_b128 v0, v[16:19] offset:128
	v_accvgpr_read_b32 v0, a150
	v_accvgpr_read_b32 v92, a164
	ds_write_b128 v0, v[68:71]
	ds_write_b128 v0, v[72:75] offset:64
	ds_write_b128 v0, v[20:23] offset:128
	v_accvgpr_read_b32 v0, a151
	v_accvgpr_read_b32 v94, a166
	;; [unrolled: 1-line block ×3, first 2 shown]
	ds_write_b128 v0, v[84:87]
	ds_write_b128 v0, v[88:91] offset:64
	ds_write_b128 v0, v[24:27] offset:128
	s_waitcnt lgkmcnt(0)
	; wave barrier
	s_waitcnt lgkmcnt(0)
	ds_read_b128 v[8:11], v78
	ds_read_b128 v[4:7], v78 offset:704
	ds_read_b128 v[12:15], v78 offset:4224
	;; [unrolled: 1-line block ×20, first 2 shown]
	v_accvgpr_read_b32 v93, a165
	s_waitcnt lgkmcnt(12)
	v_mul_f64 v[76:77], v[94:95], v[38:39]
	v_fmac_f64_e32 v[76:77], v[92:93], v[36:37]
	v_mul_f64 v[36:37], v[94:95], v[36:37]
	v_fma_f64 v[92:93], v[92:93], v[38:39], -v[36:37]
	v_accvgpr_read_b32 v36, a160
	v_accvgpr_read_b32 v38, a162
	;; [unrolled: 1-line block ×4, first 2 shown]
	v_mul_f64 v[94:95], v[38:39], v[14:15]
	v_accvgpr_read_b32 v96, a156
	v_fmac_f64_e32 v[94:95], v[36:37], v[12:13]
	v_mul_f64 v[12:13], v[38:39], v[12:13]
	v_accvgpr_read_b32 v98, a158
	v_accvgpr_read_b32 v99, a159
	v_fma_f64 v[12:13], v[36:37], v[14:15], -v[12:13]
	v_accvgpr_read_b32 v97, a157
	s_waitcnt lgkmcnt(8)
	v_mul_f64 v[14:15], v[98:99], v[50:51]
	v_mul_f64 v[36:37], v[98:99], v[48:49]
	v_fmac_f64_e32 v[14:15], v[96:97], v[48:49]
	v_fma_f64 v[96:97], v[96:97], v[50:51], -v[36:37]
	v_accvgpr_read_b32 v36, a152
	v_accvgpr_read_b32 v38, a154
	;; [unrolled: 1-line block ×4, first 2 shown]
	v_mul_f64 v[98:99], v[38:39], v[22:23]
	v_accvgpr_read_b32 v48, a172
	v_fmac_f64_e32 v[98:99], v[36:37], v[20:21]
	v_mul_f64 v[20:21], v[38:39], v[20:21]
	v_accvgpr_read_b32 v50, a174
	v_accvgpr_read_b32 v51, a175
	v_fma_f64 v[20:21], v[36:37], v[22:23], -v[20:21]
	v_accvgpr_read_b32 v49, a173
	s_waitcnt lgkmcnt(4)
	v_mul_f64 v[22:23], v[50:51], v[66:67]
	v_mul_f64 v[36:37], v[50:51], v[64:65]
	v_fmac_f64_e32 v[22:23], v[48:49], v[64:65]
	v_fma_f64 v[64:65], v[48:49], v[66:67], -v[36:37]
	v_accvgpr_read_b32 v36, a168
	v_accvgpr_read_b32 v38, a170
	;; [unrolled: 1-line block ×4, first 2 shown]
	v_mul_f64 v[66:67], v[38:39], v[30:31]
	v_fmac_f64_e32 v[66:67], v[36:37], v[28:29]
	v_mul_f64 v[28:29], v[38:39], v[28:29]
	v_fma_f64 v[28:29], v[36:37], v[30:31], -v[28:29]
	v_accvgpr_read_b32 v36, a188
	v_accvgpr_read_b32 v38, a190
	;; [unrolled: 1-line block ×4, first 2 shown]
	v_mul_f64 v[100:101], v[38:39], v[42:43]
	v_mul_f64 v[30:31], v[38:39], v[40:41]
	v_fmac_f64_e32 v[100:101], v[36:37], v[40:41]
	v_fma_f64 v[102:103], v[36:37], v[42:43], -v[30:31]
	v_accvgpr_read_b32 v36, a184
	v_accvgpr_read_b32 v38, a186
	;; [unrolled: 1-line block ×4, first 2 shown]
	v_mul_f64 v[104:105], v[38:39], v[18:19]
	v_fmac_f64_e32 v[104:105], v[36:37], v[16:17]
	v_mul_f64 v[16:17], v[38:39], v[16:17]
	v_fma_f64 v[106:107], v[36:37], v[18:19], -v[16:17]
	v_accvgpr_read_b32 v36, a180
	v_accvgpr_read_b32 v38, a182
	;; [unrolled: 1-line block ×4, first 2 shown]
	v_mul_f64 v[108:109], v[38:39], v[58:59]
	v_mul_f64 v[16:17], v[38:39], v[56:57]
	v_fmac_f64_e32 v[108:109], v[36:37], v[56:57]
	v_fma_f64 v[110:111], v[36:37], v[58:59], -v[16:17]
	v_accvgpr_read_b32 v36, a176
	v_accvgpr_read_b32 v38, a178
	;; [unrolled: 1-line block ×4, first 2 shown]
	v_mul_f64 v[112:113], v[38:39], v[26:27]
	v_mul_f64 v[16:17], v[38:39], v[24:25]
	v_fmac_f64_e32 v[112:113], v[36:37], v[24:25]
	v_fma_f64 v[114:115], v[36:37], v[26:27], -v[16:17]
	v_accvgpr_read_b32 v24, a196
	v_accvgpr_read_b32 v26, a198
	;; [unrolled: 1-line block ×4, first 2 shown]
	s_waitcnt lgkmcnt(2)
	v_mul_f64 v[116:117], v[26:27], v[74:75]
	v_mul_f64 v[16:17], v[26:27], v[72:73]
	v_fmac_f64_e32 v[116:117], v[24:25], v[72:73]
	v_fma_f64 v[72:73], v[24:25], v[74:75], -v[16:17]
	v_accvgpr_read_b32 v24, a192
	v_accvgpr_read_b32 v26, a194
	v_accvgpr_read_b32 v27, a195
	v_accvgpr_read_b32 v25, a193
	v_mul_f64 v[74:75], v[26:27], v[34:35]
	v_mul_f64 v[16:17], v[26:27], v[32:33]
	v_fmac_f64_e32 v[74:75], v[24:25], v[32:33]
	v_fma_f64 v[118:119], v[24:25], v[34:35], -v[16:17]
	v_accvgpr_read_b32 v24, a212
	v_accvgpr_read_b32 v26, a214
	v_accvgpr_read_b32 v27, a215
	v_accvgpr_read_b32 v25, a213
	;; [unrolled: 8-line block ×6, first 2 shown]
	s_waitcnt lgkmcnt(1)
	v_mul_f64 v[52:53], v[26:27], v[86:87]
	v_mul_f64 v[16:17], v[26:27], v[84:85]
	v_fmac_f64_e32 v[52:53], v[24:25], v[84:85]
	v_fma_f64 v[54:55], v[24:25], v[86:87], -v[16:17]
	v_accvgpr_read_b32 v24, a216
	v_accvgpr_read_b32 v26, a218
	;; [unrolled: 1-line block ×4, first 2 shown]
	s_waitcnt lgkmcnt(0)
	v_mul_f64 v[16:17], v[26:27], v[88:89]
	v_mul_f64 v[56:57], v[26:27], v[90:91]
	v_fma_f64 v[58:59], v[24:25], v[90:91], -v[16:17]
	v_add_f64 v[16:17], v[76:77], v[66:67]
	v_add_f64 v[18:19], v[92:93], v[28:29]
	v_add_f64 v[26:27], v[92:93], -v[28:29]
	v_add_f64 v[28:29], v[94:95], v[22:23]
	v_add_f64 v[30:31], v[12:13], v[64:65]
	v_add_f64 v[32:33], v[14:15], v[98:99]
	v_add_f64 v[60:61], v[28:29], v[16:17]
	v_add_f64 v[12:13], v[12:13], -v[64:65]
	v_add_f64 v[34:35], v[96:97], v[20:21]
	v_add_f64 v[62:63], v[30:31], v[18:19]
	v_add_f64 v[64:65], v[28:29], -v[16:17]
	v_add_f64 v[16:17], v[16:17], -v[32:33]
	;; [unrolled: 1-line block ×3, first 2 shown]
	v_add_f64 v[32:33], v[32:33], v[60:61]
	v_fmac_f64_e32 v[56:57], v[24:25], v[88:89]
	v_add_f64 v[24:25], v[76:77], -v[66:67]
	v_add_f64 v[22:23], v[94:95], -v[22:23]
	;; [unrolled: 1-line block ×7, first 2 shown]
	v_add_f64 v[34:35], v[34:35], v[62:63]
	v_add_f64 v[8:9], v[8:9], v[32:33]
	s_mov_b32 s6, 0x37e14327
	s_mov_b32 s0, 0x36b3c0b5
	;; [unrolled: 1-line block ×4, first 2 shown]
	v_add_f64 v[68:69], v[14:15], v[22:23]
	v_add_f64 v[70:71], v[20:21], v[12:13]
	v_add_f64 v[76:77], v[14:15], -v[22:23]
	v_add_f64 v[84:85], v[20:21], -v[12:13]
	v_add_f64 v[10:11], v[10:11], v[34:35]
	s_mov_b32 s7, 0x3fe948f6
	s_mov_b32 s1, 0x3fac98ee
	;; [unrolled: 1-line block ×5, first 2 shown]
	v_mov_b64_e32 v[86:87], v[8:9]
	s_mov_b32 s20, 0x5476071b
	s_mov_b32 s24, 0xb247c609
	v_add_f64 v[14:15], v[24:25], -v[14:15]
	v_add_f64 v[20:21], v[26:27], -v[20:21]
	;; [unrolled: 1-line block ×4, first 2 shown]
	v_add_f64 v[24:25], v[68:69], v[24:25]
	v_add_f64 v[26:27], v[70:71], v[26:27]
	v_mul_f64 v[16:17], v[16:17], s[6:7]
	v_mul_f64 v[18:19], v[18:19], s[6:7]
	;; [unrolled: 1-line block ×6, first 2 shown]
	s_mov_b32 s15, 0xbfebfeb5
	v_fmac_f64_e32 v[86:87], s[18:19], v[32:33]
	v_mov_b64_e32 v[32:33], v[10:11]
	s_mov_b32 s21, 0x3fe77f67
	s_mov_b32 s23, 0xbfe77f67
	;; [unrolled: 1-line block ×5, first 2 shown]
	v_mul_f64 v[76:77], v[22:23], s[14:15]
	v_mul_f64 v[84:85], v[12:13], s[14:15]
	v_fmac_f64_e32 v[32:33], s[18:19], v[34:35]
	v_fma_f64 v[34:35], v[64:65], s[20:21], -v[60:61]
	v_fma_f64 v[60:61], v[66:67], s[20:21], -v[62:63]
	v_fma_f64 v[62:63], v[64:65], s[22:23], -v[16:17]
	v_fmac_f64_e32 v[16:17], s[0:1], v[28:29]
	v_fma_f64 v[28:29], v[66:67], s[22:23], -v[18:19]
	v_fmac_f64_e32 v[18:19], s[0:1], v[30:31]
	v_fma_f64 v[30:31], v[22:23], s[14:15], -v[68:69]
	;; [unrolled: 2-line block ×3, first 2 shown]
	s_mov_b32 s29, 0x3fd5d0dc
	s_mov_b32 s28, s24
	;; [unrolled: 1-line block ×3, first 2 shown]
	v_fmac_f64_e32 v[70:71], s[24:25], v[20:21]
	v_fma_f64 v[66:67], v[14:15], s[28:29], -v[76:77]
	v_fma_f64 v[76:77], v[20:21], s[28:29], -v[84:85]
	v_add_f64 v[88:89], v[18:19], v[32:33]
	v_add_f64 v[34:35], v[34:35], v[86:87]
	;; [unrolled: 1-line block ×3, first 2 shown]
	v_fmac_f64_e32 v[68:69], s[26:27], v[24:25]
	v_fmac_f64_e32 v[30:31], s[26:27], v[24:25]
	;; [unrolled: 1-line block ×3, first 2 shown]
	v_add_f64 v[84:85], v[16:17], v[86:87]
	v_add_f64 v[62:63], v[62:63], v[86:87]
	;; [unrolled: 1-line block ×3, first 2 shown]
	v_fmac_f64_e32 v[70:71], s[26:27], v[26:27]
	v_fmac_f64_e32 v[66:67], s[26:27], v[24:25]
	;; [unrolled: 1-line block ×3, first 2 shown]
	v_add_f64 v[14:15], v[88:89], -v[68:69]
	v_add_f64 v[20:21], v[34:35], -v[64:65]
	v_add_f64 v[22:23], v[30:31], v[60:61]
	v_add_f64 v[24:25], v[64:65], v[34:35]
	v_add_f64 v[26:27], v[60:61], -v[30:31]
	v_add_f64 v[34:35], v[68:69], v[88:89]
	v_add_f64 v[60:61], v[100:101], v[74:75]
	;; [unrolled: 1-line block ×5, first 2 shown]
	v_add_f64 v[18:19], v[32:33], -v[66:67]
	v_add_f64 v[28:29], v[62:63], -v[76:77]
	v_add_f64 v[30:31], v[66:67], v[32:33]
	v_add_f64 v[32:33], v[84:85], -v[70:71]
	v_add_f64 v[62:63], v[102:103], v[118:119]
	v_add_f64 v[70:71], v[106:107], v[72:73]
	;; [unrolled: 1-line block ×6, first 2 shown]
	v_add_f64 v[94:95], v[68:69], -v[60:61]
	v_add_f64 v[60:61], v[60:61], -v[76:77]
	v_add_f64 v[68:69], v[76:77], -v[68:69]
	v_add_f64 v[76:77], v[76:77], v[90:91]
	v_add_f64 v[64:65], v[100:101], -v[74:75]
	v_add_f64 v[74:75], v[104:105], -v[116:117]
	;; [unrolled: 1-line block ×8, first 2 shown]
	v_add_f64 v[84:85], v[84:85], v[92:93]
	v_add_f64 v[4:5], v[4:5], v[76:77]
	v_add_f64 v[66:67], v[102:103], -v[118:119]
	v_add_f64 v[98:99], v[86:87], v[74:75]
	v_add_f64 v[100:101], v[88:89], v[72:73]
	v_add_f64 v[102:103], v[86:87], -v[74:75]
	v_add_f64 v[104:105], v[88:89], -v[72:73]
	v_add_f64 v[6:7], v[6:7], v[84:85]
	v_mov_b64_e32 v[106:107], v[4:5]
	v_add_f64 v[86:87], v[64:65], -v[86:87]
	v_add_f64 v[88:89], v[66:67], -v[88:89]
	;; [unrolled: 1-line block ×4, first 2 shown]
	v_add_f64 v[64:65], v[98:99], v[64:65]
	v_add_f64 v[66:67], v[100:101], v[66:67]
	v_mul_f64 v[90:91], v[68:69], s[0:1]
	v_mul_f64 v[92:93], v[70:71], s[0:1]
	;; [unrolled: 1-line block ×4, first 2 shown]
	v_fmac_f64_e32 v[106:107], s[18:19], v[76:77]
	v_mov_b64_e32 v[76:77], v[6:7]
	v_mul_f64 v[60:61], v[60:61], s[6:7]
	v_mul_f64 v[62:63], v[62:63], s[6:7]
	;; [unrolled: 1-line block ×4, first 2 shown]
	v_fmac_f64_e32 v[76:77], s[18:19], v[84:85]
	v_fma_f64 v[84:85], v[94:95], s[20:21], -v[90:91]
	v_fma_f64 v[90:91], v[96:97], s[20:21], -v[92:93]
	;; [unrolled: 1-line block ×5, first 2 shown]
	v_fmac_f64_e32 v[60:61], s[0:1], v[68:69]
	v_fma_f64 v[68:69], v[96:97], s[22:23], -v[62:63]
	v_fmac_f64_e32 v[62:63], s[0:1], v[70:71]
	v_fmac_f64_e32 v[98:99], s[24:25], v[86:87]
	v_fma_f64 v[94:95], v[86:87], s[28:29], -v[102:103]
	v_add_f64 v[84:85], v[84:85], v[106:107]
	v_add_f64 v[86:87], v[90:91], v[76:77]
	v_fmac_f64_e32 v[74:75], s[26:27], v[64:65]
	v_fmac_f64_e32 v[72:73], s[26:27], v[66:67]
	;; [unrolled: 1-line block ×3, first 2 shown]
	v_fma_f64 v[88:89], v[88:89], s[28:29], -v[104:105]
	v_add_f64 v[102:103], v[62:63], v[76:77]
	v_add_f64 v[76:77], v[68:69], v[76:77]
	v_add_f64 v[68:69], v[84:85], -v[72:73]
	v_add_f64 v[70:71], v[74:75], v[86:87]
	v_add_f64 v[84:85], v[72:73], v[84:85]
	v_add_f64 v[86:87], v[86:87], -v[74:75]
	;; [unrolled: 3-line block ×3, first 2 shown]
	v_add_f64 v[42:43], v[42:43], -v[58:59]
	v_add_f64 v[56:57], v[38:39], v[52:53]
	v_add_f64 v[58:59], v[44:45], v[54:55]
	;; [unrolled: 1-line block ×4, first 2 shown]
	v_fmac_f64_e32 v[100:101], s[26:27], v[66:67]
	v_fmac_f64_e32 v[94:95], s[26:27], v[64:65]
	;; [unrolled: 1-line block ×3, first 2 shown]
	v_add_f64 v[38:39], v[38:39], -v[52:53]
	v_add_f64 v[44:45], v[44:45], -v[54:55]
	v_add_f64 v[52:53], v[40:41], v[48:49]
	v_add_f64 v[54:55], v[46:47], v[50:51]
	v_add_f64 v[40:41], v[48:49], -v[40:41]
	v_add_f64 v[46:47], v[50:51], -v[46:47]
	v_add_f64 v[48:49], v[56:57], v[72:73]
	v_add_f64 v[50:51], v[58:59], v[74:75]
	v_fmac_f64_e32 v[98:99], s[26:27], v[64:65]
	v_add_f64 v[60:61], v[100:101], v[96:97]
	v_add_f64 v[64:65], v[88:89], v[90:91]
	v_add_f64 v[66:67], v[76:77], -v[94:95]
	v_add_f64 v[88:89], v[90:91], -v[88:89]
	v_add_f64 v[90:91], v[94:95], v[76:77]
	v_add_f64 v[132:133], v[96:97], -v[100:101]
	v_add_f64 v[76:77], v[56:57], -v[72:73]
	;; [unrolled: 1-line block ×5, first 2 shown]
	v_add_f64 v[96:97], v[46:47], v[44:45]
	v_add_f64 v[100:101], v[46:47], -v[44:45]
	v_add_f64 v[44:45], v[44:45], -v[42:43]
	v_add_f64 v[48:49], v[52:53], v[48:49]
	v_add_f64 v[50:51], v[54:55], v[50:51]
	v_add_f64 v[56:57], v[52:53], -v[56:57]
	v_add_f64 v[46:47], v[42:43], -v[46:47]
	v_add_f64 v[42:43], v[96:97], v[42:43]
	v_add_f64 v[136:137], v[0:1], v[48:49]
	;; [unrolled: 1-line block ×3, first 2 shown]
	v_mul_f64 v[0:1], v[72:73], s[6:7]
	v_mul_f64 v[2:3], v[74:75], s[6:7]
	;; [unrolled: 1-line block ×4, first 2 shown]
	v_add_f64 v[62:63], v[102:103], -v[98:99]
	v_add_f64 v[134:135], v[98:99], v[102:103]
	v_add_f64 v[58:59], v[54:55], -v[58:59]
	v_add_f64 v[94:95], v[40:41], v[38:39]
	v_add_f64 v[98:99], v[40:41], -v[38:39]
	v_add_f64 v[38:39], v[38:39], -v[36:37]
	v_mul_f64 v[52:53], v[56:57], s[0:1]
	v_fma_f64 v[48:49], s[18:19], v[48:49], v[136:137]
	v_fma_f64 v[56:57], s[0:1], v[56:57], v[0:1]
	v_fma_f64 v[0:1], v[76:77], s[22:23], -v[0:1]
	v_fma_f64 v[44:45], v[44:45], s[14:15], -v[74:75]
	v_fmac_f64_e32 v[74:75], s[24:25], v[46:47]
	v_fma_f64 v[46:47], v[46:47], s[28:29], -v[96:97]
	v_add_f64 v[40:41], v[36:37], -v[40:41]
	v_add_f64 v[36:37], v[94:95], v[36:37]
	v_mul_f64 v[54:55], v[58:59], s[0:1]
	v_mul_f64 v[72:73], v[98:99], s[16:17]
	v_mul_f64 v[94:95], v[38:39], s[14:15]
	v_add_f64 v[0:1], v[0:1], v[48:49]
	v_fmac_f64_e32 v[46:47], s[26:27], v[42:43]
	v_fma_f64 v[50:51], s[18:19], v[50:51], v[138:139]
	v_fma_f64 v[52:53], v[76:77], s[20:21], -v[52:53]
	v_fma_f64 v[54:55], v[92:93], s[20:21], -v[54:55]
	;; [unrolled: 1-line block ×3, first 2 shown]
	v_fmac_f64_e32 v[2:3], s[0:1], v[58:59]
	v_fma_f64 v[58:59], s[24:25], v[40:41], v[72:73]
	v_fma_f64 v[38:39], v[38:39], s[14:15], -v[72:73]
	v_fma_f64 v[40:41], v[40:41], s[28:29], -v[94:95]
	v_add_f64 v[144:145], v[46:47], v[0:1]
	v_add_f64 v[156:157], v[0:1], -v[46:47]
	v_accvgpr_read_b32 v0, a224
	v_add_f64 v[56:57], v[56:57], v[48:49]
	v_add_f64 v[2:3], v[2:3], v[50:51]
	;; [unrolled: 1-line block ×5, first 2 shown]
	v_fmac_f64_e32 v[58:59], s[26:27], v[36:37]
	v_fmac_f64_e32 v[74:75], s[26:27], v[42:43]
	;; [unrolled: 1-line block ×5, first 2 shown]
	s_waitcnt lgkmcnt(0)
	; wave barrier
	ds_write_b128 v0, v[8:11]
	ds_write_b128 v0, v[12:15] offset:192
	ds_write_b128 v0, v[16:19] offset:384
	ds_write_b128 v0, v[20:23] offset:576
	ds_write_b128 v0, v[24:27] offset:768
	ds_write_b128 v0, v[28:31] offset:960
	ds_write_b128 v0, v[32:35] offset:1152
	v_accvgpr_read_b32 v0, a225
	v_add_f64 v[140:141], v[74:75], v[56:57]
	v_add_f64 v[142:143], v[2:3], -v[58:59]
	v_add_f64 v[146:147], v[48:49], -v[40:41]
	;; [unrolled: 1-line block ×3, first 2 shown]
	v_add_f64 v[150:151], v[38:39], v[54:55]
	v_add_f64 v[152:153], v[44:45], v[52:53]
	v_add_f64 v[154:155], v[54:55], -v[38:39]
	v_add_f64 v[158:159], v[40:41], v[48:49]
	v_add_f64 v[160:161], v[56:57], -v[74:75]
	v_add_f64 v[162:163], v[58:59], v[2:3]
	ds_write_b128 v0, v[4:7]
	ds_write_b128 v0, v[60:63] offset:192
	ds_write_b128 v0, v[64:67] offset:384
	;; [unrolled: 1-line block ×6, first 2 shown]
	ds_write_b128 v79, v[136:139]
	ds_write_b128 v79, v[140:143] offset:192
	ds_write_b128 v79, v[144:147] offset:384
	;; [unrolled: 1-line block ×6, first 2 shown]
	s_waitcnt lgkmcnt(0)
	; wave barrier
	s_waitcnt lgkmcnt(0)
	ds_read_b128 v[0:3], v78
	ds_read_b128 v[40:43], v78 offset:1344
	ds_read_b128 v[36:39], v78 offset:2688
	;; [unrolled: 1-line block ×10, first 2 shown]
	s_and_saveexec_b64 s[0:1], s[2:3]
	s_cbranch_execz .LBB0_27
; %bb.26:
	ds_read_b128 v[84:87], v78 offset:704
	ds_read_b128 v[88:91], v78 offset:2048
	;; [unrolled: 1-line block ×11, first 2 shown]
.LBB0_27:
	s_or_b64 exec, exec, s[0:1]
	s_waitcnt lgkmcnt(9)
	v_mul_f64 v[44:45], v[218:219], v[42:43]
	v_accvgpr_read_b32 v46, a234
	v_fmac_f64_e32 v[44:45], v[216:217], v[40:41]
	v_mul_f64 v[40:41], v[218:219], v[40:41]
	v_accvgpr_read_b32 v48, a236
	v_accvgpr_read_b32 v49, a237
	v_fma_f64 v[40:41], v[216:217], v[42:43], -v[40:41]
	v_accvgpr_read_b32 v47, a235
	s_waitcnt lgkmcnt(8)
	v_mul_f64 v[42:43], v[48:49], v[38:39]
	v_fmac_f64_e32 v[42:43], v[46:47], v[36:37]
	v_mul_f64 v[36:37], v[48:49], v[36:37]
	v_fma_f64 v[36:37], v[46:47], v[38:39], -v[36:37]
	v_accvgpr_read_b32 v46, a230
	v_accvgpr_read_b32 v48, a232
	v_accvgpr_read_b32 v49, a233
	v_accvgpr_read_b32 v47, a231
	s_waitcnt lgkmcnt(7)
	v_mul_f64 v[38:39], v[48:49], v[34:35]
	v_fmac_f64_e32 v[38:39], v[46:47], v[32:33]
	v_mul_f64 v[32:33], v[48:49], v[32:33]
	v_fma_f64 v[34:35], v[46:47], v[34:35], -v[32:33]
	v_accvgpr_read_b32 v46, a226
	v_accvgpr_read_b32 v48, a228
	;; [unrolled: 1-line block ×4, first 2 shown]
	s_waitcnt lgkmcnt(6)
	v_mul_f64 v[32:33], v[48:49], v[30:31]
	v_fmac_f64_e32 v[32:33], v[46:47], v[28:29]
	v_mul_f64 v[28:29], v[48:49], v[28:29]
	v_fma_f64 v[30:31], v[46:47], v[30:31], -v[28:29]
	s_waitcnt lgkmcnt(5)
	v_mul_f64 v[28:29], v[234:235], v[26:27]
	v_fmac_f64_e32 v[28:29], v[232:233], v[24:25]
	v_mul_f64 v[24:25], v[234:235], v[24:25]
	v_fma_f64 v[24:25], v[232:233], v[26:27], -v[24:25]
	;; [unrolled: 5-line block ×7, first 2 shown]
	v_add_f64 v[4:5], v[0:1], v[44:45]
	v_add_f64 v[6:7], v[2:3], v[40:41]
	v_add_f64 v[4:5], v[4:5], v[42:43]
	v_add_f64 v[6:7], v[6:7], v[36:37]
	v_add_f64 v[4:5], v[4:5], v[38:39]
	v_add_f64 v[6:7], v[6:7], v[34:35]
	v_add_f64 v[4:5], v[4:5], v[32:33]
	v_add_f64 v[6:7], v[6:7], v[30:31]
	v_add_f64 v[4:5], v[4:5], v[28:29]
	v_add_f64 v[6:7], v[6:7], v[24:25]
	v_add_f64 v[4:5], v[4:5], v[26:27]
	v_add_f64 v[6:7], v[6:7], v[20:21]
	v_add_f64 v[4:5], v[4:5], v[22:23]
	v_add_f64 v[6:7], v[6:7], v[16:17]
	v_add_f64 v[4:5], v[4:5], v[18:19]
	s_mov_b32 s6, 0xf8bb580b
	s_mov_b32 s16, 0x8eee2c13
	;; [unrolled: 1-line block ×4, first 2 shown]
	v_add_f64 v[6:7], v[6:7], v[12:13]
	v_add_f64 v[4:5], v[4:5], v[14:15]
	;; [unrolled: 1-line block ×3, first 2 shown]
	v_add_f64 v[40:41], v[40:41], -v[46:47]
	s_mov_b32 s7, 0xbfe14ced
	s_mov_b32 s0, 0x8764f0ba
	;; [unrolled: 1-line block ×9, first 2 shown]
	v_add_f64 v[6:7], v[6:7], v[8:9]
	v_add_f64 v[4:5], v[4:5], v[10:11]
	;; [unrolled: 1-line block ×3, first 2 shown]
	v_add_f64 v[10:11], v[44:45], -v[10:11]
	v_mul_f64 v[44:45], v[40:41], s[6:7]
	s_mov_b32 s1, 0x3feaeb8c
	v_mul_f64 v[56:57], v[40:41], s[16:17]
	s_mov_b32 s15, 0x3fda9628
	;; [unrolled: 2-line block ×5, first 2 shown]
	v_add_f64 v[6:7], v[6:7], v[46:47]
	v_fma_f64 v[46:47], s[0:1], v[48:49], v[44:45]
	v_fma_f64 v[44:45], v[48:49], s[0:1], -v[44:45]
	v_fma_f64 v[58:59], s[14:15], v[48:49], v[56:57]
	v_fma_f64 v[56:57], v[48:49], s[14:15], -v[56:57]
	;; [unrolled: 2-line block ×5, first 2 shown]
	v_add_f64 v[46:47], v[0:1], v[46:47]
	v_mul_f64 v[52:53], v[50:51], s[0:1]
	s_mov_b32 s29, 0x3fe14ced
	s_mov_b32 s28, s6
	v_add_f64 v[44:45], v[0:1], v[44:45]
	v_add_f64 v[58:59], v[0:1], v[58:59]
	v_mul_f64 v[60:61], v[50:51], s[14:15]
	s_mov_b32 s37, 0x3fed1bb4
	s_mov_b32 s36, s16
	v_add_f64 v[56:57], v[0:1], v[56:57]
	;; [unrolled: 5-line block ×5, first 2 shown]
	v_add_f64 v[40:41], v[36:37], v[8:9]
	v_add_f64 v[8:9], v[36:37], -v[8:9]
	v_fma_f64 v[54:55], s[28:29], v[10:11], v[52:53]
	v_fmac_f64_e32 v[52:53], s[6:7], v[10:11]
	v_fma_f64 v[62:63], s[36:37], v[10:11], v[60:61]
	v_fmac_f64_e32 v[60:61], s[16:17], v[10:11]
	v_fma_f64 v[70:71], s[34:35], v[10:11], v[68:69]
	v_fmac_f64_e32 v[68:69], s[20:21], v[10:11]
	v_fma_f64 v[92:93], s[40:41], v[10:11], v[76:77]
	v_fmac_f64_e32 v[76:77], s[24:25], v[10:11]
	v_fma_f64 v[96:97], s[38:39], v[10:11], v[50:51]
	v_fmac_f64_e32 v[50:51], s[30:31], v[10:11]
	v_add_f64 v[10:11], v[42:43], v[14:15]
	v_mul_f64 v[36:37], v[8:9], s[16:17]
	v_add_f64 v[14:15], v[42:43], -v[14:15]
	v_fma_f64 v[42:43], s[14:15], v[10:11], v[36:37]
	v_add_f64 v[42:43], v[42:43], v[46:47]
	v_mul_f64 v[46:47], v[40:41], s[14:15]
	v_add_f64 v[52:53], v[2:3], v[52:53]
	v_fma_f64 v[48:49], s[36:37], v[14:15], v[46:47]
	v_fma_f64 v[36:37], v[10:11], s[14:15], -v[36:37]
	v_fmac_f64_e32 v[46:47], s[16:17], v[14:15]
	v_add_f64 v[36:37], v[36:37], v[44:45]
	v_add_f64 v[44:45], v[46:47], v[52:53]
	v_mul_f64 v[46:47], v[8:9], s[24:25]
	v_add_f64 v[54:55], v[2:3], v[54:55]
	v_add_f64 v[62:63], v[2:3], v[62:63]
	;; [unrolled: 1-line block ×9, first 2 shown]
	v_fma_f64 v[50:51], s[22:23], v[10:11], v[46:47]
	v_fma_f64 v[46:47], v[10:11], s[22:23], -v[46:47]
	v_mul_f64 v[52:53], v[40:41], s[22:23]
	v_add_f64 v[46:47], v[46:47], v[56:57]
	v_mul_f64 v[56:57], v[8:9], s[38:39]
	v_add_f64 v[48:49], v[48:49], v[54:55]
	v_add_f64 v[50:51], v[50:51], v[58:59]
	v_fma_f64 v[54:55], s[40:41], v[14:15], v[52:53]
	v_fmac_f64_e32 v[52:53], s[24:25], v[14:15]
	v_fma_f64 v[58:59], s[26:27], v[10:11], v[56:57]
	v_fma_f64 v[56:57], v[10:11], s[26:27], -v[56:57]
	v_add_f64 v[52:53], v[52:53], v[60:61]
	v_mul_f64 v[60:61], v[40:41], s[26:27]
	v_add_f64 v[56:57], v[56:57], v[64:65]
	v_mul_f64 v[64:65], v[8:9], s[34:35]
	v_add_f64 v[54:55], v[54:55], v[62:63]
	v_add_f64 v[58:59], v[58:59], v[66:67]
	v_fma_f64 v[62:63], s[30:31], v[14:15], v[60:61]
	v_fmac_f64_e32 v[60:61], s[38:39], v[14:15]
	v_fma_f64 v[66:67], s[18:19], v[10:11], v[64:65]
	v_fma_f64 v[64:65], v[10:11], s[18:19], -v[64:65]
	v_mul_f64 v[8:9], v[8:9], s[28:29]
	v_add_f64 v[60:61], v[60:61], v[68:69]
	v_mul_f64 v[68:69], v[40:41], s[18:19]
	v_add_f64 v[64:65], v[64:65], v[72:73]
	v_fma_f64 v[72:73], s[0:1], v[10:11], v[8:9]
	v_mul_f64 v[40:41], v[40:41], s[0:1]
	v_fma_f64 v[8:9], v[10:11], s[0:1], -v[8:9]
	v_add_f64 v[10:11], v[34:35], v[12:13]
	v_add_f64 v[12:13], v[34:35], -v[12:13]
	v_add_f64 v[62:63], v[62:63], v[70:71]
	v_add_f64 v[66:67], v[66:67], v[74:75]
	v_fma_f64 v[70:71], s[20:21], v[14:15], v[68:69]
	v_fmac_f64_e32 v[68:69], s[34:35], v[14:15]
	v_fma_f64 v[74:75], s[6:7], v[14:15], v[40:41]
	v_add_f64 v[0:1], v[8:9], v[0:1]
	v_fmac_f64_e32 v[40:41], s[28:29], v[14:15]
	v_add_f64 v[8:9], v[38:39], v[18:19]
	v_add_f64 v[14:15], v[38:39], -v[18:19]
	v_mul_f64 v[18:19], v[12:13], s[20:21]
	v_mul_f64 v[38:39], v[10:11], s[18:19]
	v_add_f64 v[2:3], v[40:41], v[2:3]
	v_fma_f64 v[34:35], s[18:19], v[8:9], v[18:19]
	v_fma_f64 v[40:41], s[34:35], v[14:15], v[38:39]
	v_fma_f64 v[18:19], v[8:9], s[18:19], -v[18:19]
	v_fmac_f64_e32 v[38:39], s[20:21], v[14:15]
	v_add_f64 v[18:19], v[18:19], v[36:37]
	v_add_f64 v[36:37], v[38:39], v[44:45]
	v_mul_f64 v[38:39], v[12:13], s[38:39]
	v_add_f64 v[34:35], v[34:35], v[42:43]
	v_fma_f64 v[42:43], s[26:27], v[8:9], v[38:39]
	v_mul_f64 v[44:45], v[10:11], s[26:27]
	v_fma_f64 v[38:39], v[8:9], s[26:27], -v[38:39]
	v_add_f64 v[40:41], v[40:41], v[48:49]
	v_fma_f64 v[48:49], s[30:31], v[14:15], v[44:45]
	v_add_f64 v[38:39], v[38:39], v[46:47]
	v_fmac_f64_e32 v[44:45], s[38:39], v[14:15]
	v_mul_f64 v[46:47], v[12:13], s[36:37]
	v_add_f64 v[42:43], v[42:43], v[50:51]
	v_add_f64 v[44:45], v[44:45], v[52:53]
	v_fma_f64 v[50:51], s[14:15], v[8:9], v[46:47]
	v_mul_f64 v[52:53], v[10:11], s[14:15]
	v_fma_f64 v[46:47], v[8:9], s[14:15], -v[46:47]
	v_add_f64 v[48:49], v[48:49], v[54:55]
	v_fma_f64 v[54:55], s[16:17], v[14:15], v[52:53]
	v_add_f64 v[46:47], v[46:47], v[56:57]
	v_fmac_f64_e32 v[52:53], s[36:37], v[14:15]
	v_mul_f64 v[56:57], v[12:13], s[6:7]
	v_add_f64 v[50:51], v[50:51], v[58:59]
	v_add_f64 v[52:53], v[52:53], v[60:61]
	v_fma_f64 v[58:59], s[0:1], v[8:9], v[56:57]
	v_mul_f64 v[60:61], v[10:11], s[0:1]
	v_mul_f64 v[10:11], v[10:11], s[22:23]
	v_add_f64 v[58:59], v[58:59], v[66:67]
	v_fma_f64 v[56:57], v[8:9], s[0:1], -v[56:57]
	v_mul_f64 v[12:13], v[12:13], s[24:25]
	v_fma_f64 v[66:67], s[40:41], v[14:15], v[10:11]
	v_fmac_f64_e32 v[10:11], s[24:25], v[14:15]
	v_add_f64 v[54:55], v[54:55], v[62:63]
	v_fma_f64 v[62:63], s[28:29], v[14:15], v[60:61]
	v_add_f64 v[56:57], v[56:57], v[64:65]
	v_fmac_f64_e32 v[60:61], s[6:7], v[14:15]
	v_fma_f64 v[64:65], s[22:23], v[8:9], v[12:13]
	v_fma_f64 v[8:9], v[8:9], s[22:23], -v[12:13]
	v_add_f64 v[2:3], v[10:11], v[2:3]
	v_add_f64 v[10:11], v[30:31], v[16:17]
	v_add_f64 v[14:15], v[30:31], -v[16:17]
	v_add_f64 v[0:1], v[8:9], v[0:1]
	v_add_f64 v[8:9], v[32:33], v[22:23]
	v_add_f64 v[12:13], v[32:33], -v[22:23]
	v_mul_f64 v[16:17], v[14:15], s[24:25]
	v_mul_f64 v[30:31], v[10:11], s[22:23]
	v_fma_f64 v[22:23], s[22:23], v[8:9], v[16:17]
	v_fma_f64 v[32:33], s[40:41], v[12:13], v[30:31]
	v_fma_f64 v[16:17], v[8:9], s[22:23], -v[16:17]
	v_fmac_f64_e32 v[30:31], s[24:25], v[12:13]
	v_add_f64 v[16:17], v[16:17], v[18:19]
	v_add_f64 v[18:19], v[30:31], v[36:37]
	v_mul_f64 v[30:31], v[14:15], s[34:35]
	v_add_f64 v[22:23], v[22:23], v[34:35]
	v_fma_f64 v[34:35], s[18:19], v[8:9], v[30:31]
	v_mul_f64 v[36:37], v[10:11], s[18:19]
	v_fma_f64 v[30:31], v[8:9], s[18:19], -v[30:31]
	v_add_f64 v[32:33], v[32:33], v[40:41]
	v_fma_f64 v[40:41], s[20:21], v[12:13], v[36:37]
	v_add_f64 v[30:31], v[30:31], v[38:39]
	v_fmac_f64_e32 v[36:37], s[34:35], v[12:13]
	v_mul_f64 v[38:39], v[14:15], s[6:7]
	v_add_f64 v[34:35], v[34:35], v[42:43]
	v_add_f64 v[36:37], v[36:37], v[44:45]
	v_fma_f64 v[42:43], s[0:1], v[8:9], v[38:39]
	v_mul_f64 v[44:45], v[10:11], s[0:1]
	v_fma_f64 v[38:39], v[8:9], s[0:1], -v[38:39]
	v_add_f64 v[40:41], v[40:41], v[48:49]
	v_fma_f64 v[48:49], s[28:29], v[12:13], v[44:45]
	v_add_f64 v[38:39], v[38:39], v[46:47]
	v_fmac_f64_e32 v[44:45], s[6:7], v[12:13]
	v_mul_f64 v[46:47], v[14:15], s[30:31]
	v_add_f64 v[74:75], v[74:75], v[96:97]
	v_add_f64 v[42:43], v[42:43], v[50:51]
	;; [unrolled: 1-line block ×3, first 2 shown]
	v_fma_f64 v[50:51], s[26:27], v[8:9], v[46:47]
	v_mul_f64 v[52:53], v[10:11], s[26:27]
	v_mul_f64 v[10:11], v[10:11], s[14:15]
	v_add_f64 v[70:71], v[70:71], v[92:93]
	v_add_f64 v[68:69], v[68:69], v[76:77]
	;; [unrolled: 1-line block ×5, first 2 shown]
	v_fma_f64 v[46:47], v[8:9], s[26:27], -v[46:47]
	v_mul_f64 v[14:15], v[14:15], s[36:37]
	v_fma_f64 v[58:59], s[16:17], v[12:13], v[10:11]
	v_add_f64 v[62:63], v[62:63], v[70:71]
	v_add_f64 v[60:61], v[60:61], v[68:69]
	;; [unrolled: 1-line block ×4, first 2 shown]
	v_fma_f64 v[54:55], s[38:39], v[12:13], v[52:53]
	v_add_f64 v[46:47], v[46:47], v[56:57]
	v_fmac_f64_e32 v[52:53], s[30:31], v[12:13]
	v_fma_f64 v[56:57], s[14:15], v[8:9], v[14:15]
	v_add_f64 v[58:59], v[58:59], v[66:67]
	v_fma_f64 v[8:9], v[8:9], s[14:15], -v[14:15]
	v_fmac_f64_e32 v[10:11], s[36:37], v[12:13]
	v_add_f64 v[66:67], v[24:25], v[20:21]
	v_add_f64 v[70:71], v[24:25], -v[20:21]
	v_add_f64 v[54:55], v[54:55], v[62:63]
	v_add_f64 v[52:53], v[52:53], v[60:61]
	;; [unrolled: 1-line block ×6, first 2 shown]
	v_add_f64 v[68:69], v[28:29], -v[26:27]
	v_mul_f64 v[8:9], v[70:71], s[30:31]
	v_mul_f64 v[10:11], v[66:67], s[26:27]
	v_fma_f64 v[0:1], s[26:27], v[64:65], v[8:9]
	v_fma_f64 v[2:3], s[38:39], v[68:69], v[10:11]
	v_fma_f64 v[8:9], v[64:65], s[26:27], -v[8:9]
	v_fmac_f64_e32 v[10:11], s[30:31], v[68:69]
	v_add_f64 v[8:9], v[8:9], v[16:17]
	v_add_f64 v[10:11], v[10:11], v[18:19]
	v_mul_f64 v[16:17], v[70:71], s[28:29]
	v_mul_f64 v[18:19], v[66:67], s[0:1]
	v_mul_f64 v[24:25], v[70:71], s[24:25]
	v_fma_f64 v[12:13], s[0:1], v[64:65], v[16:17]
	v_fma_f64 v[14:15], s[6:7], v[68:69], v[18:19]
	v_fma_f64 v[20:21], s[22:23], v[64:65], v[24:25]
	v_add_f64 v[2:3], v[2:3], v[32:33]
	v_add_f64 v[12:13], v[12:13], v[34:35]
	;; [unrolled: 1-line block ×3, first 2 shown]
	v_fma_f64 v[16:17], v[64:65], s[0:1], -v[16:17]
	v_fmac_f64_e32 v[18:19], s[28:29], v[68:69]
	v_add_f64 v[20:21], v[20:21], v[42:43]
	v_mul_f64 v[26:27], v[66:67], s[22:23]
	v_fma_f64 v[24:25], v[64:65], s[22:23], -v[24:25]
	v_mul_f64 v[32:33], v[70:71], s[36:37]
	v_mul_f64 v[34:35], v[66:67], s[14:15]
	;; [unrolled: 1-line block ×4, first 2 shown]
	v_add_f64 v[0:1], v[0:1], v[22:23]
	v_add_f64 v[16:17], v[16:17], v[30:31]
	;; [unrolled: 1-line block ×3, first 2 shown]
	v_fma_f64 v[22:23], s[40:41], v[68:69], v[26:27]
	v_add_f64 v[24:25], v[24:25], v[38:39]
	v_fmac_f64_e32 v[26:27], s[24:25], v[68:69]
	v_fma_f64 v[28:29], s[14:15], v[64:65], v[32:33]
	v_fma_f64 v[30:31], s[16:17], v[68:69], v[34:35]
	v_fma_f64 v[32:33], v[64:65], s[14:15], -v[32:33]
	v_fmac_f64_e32 v[34:35], s[36:37], v[68:69]
	v_fma_f64 v[36:37], s[18:19], v[64:65], v[40:41]
	v_fma_f64 v[38:39], s[34:35], v[68:69], v[42:43]
	v_fma_f64 v[40:41], v[64:65], s[18:19], -v[40:41]
	v_fmac_f64_e32 v[42:43], s[20:21], v[68:69]
	v_add_f64 v[22:23], v[22:23], v[48:49]
	v_add_f64 v[26:27], v[26:27], v[44:45]
	v_add_f64 v[28:29], v[28:29], v[50:51]
	v_add_f64 v[30:31], v[30:31], v[54:55]
	v_add_f64 v[32:33], v[32:33], v[46:47]
	v_add_f64 v[34:35], v[34:35], v[52:53]
	v_add_f64 v[36:37], v[36:37], v[56:57]
	v_add_f64 v[38:39], v[38:39], v[58:59]
	v_add_f64 v[40:41], v[40:41], v[60:61]
	v_add_f64 v[42:43], v[42:43], v[62:63]
	ds_write_b128 v78, v[4:7]
	ds_write_b128 v78, v[0:3] offset:1344
	ds_write_b128 v78, v[12:15] offset:2688
	;; [unrolled: 1-line block ×10, first 2 shown]
	s_and_saveexec_b64 s[40:41], s[2:3]
	s_cbranch_execz .LBB0_29
; %bb.28:
	v_accvgpr_read_b32 v10, a138
	v_accvgpr_read_b32 v12, a140
	v_accvgpr_read_b32 v13, a141
	v_accvgpr_read_b32 v6, a134
	v_accvgpr_read_b32 v11, a139
	v_mul_f64 v[16:17], v[12:13], v[146:147]
	v_accvgpr_read_b32 v8, a136
	v_accvgpr_read_b32 v9, a137
	v_mul_f64 v[0:1], v[12:13], v[144:145]
	v_fmac_f64_e32 v[16:17], v[10:11], v[144:145]
	v_mul_f64 v[18:19], v[8:9], v[150:151]
	v_fma_f64 v[24:25], v[10:11], v[146:147], -v[0:1]
	v_mul_f64 v[0:1], v[8:9], v[148:149]
	v_accvgpr_read_b32 v8, a112
	v_accvgpr_read_b32 v10, a114
	;; [unrolled: 1-line block ×7, first 2 shown]
	v_mul_f64 v[2:3], v[10:11], v[140:141]
	v_accvgpr_read_b32 v13, a127
	v_mul_f64 v[22:23], v[14:15], v[154:155]
	v_fma_f64 v[34:35], v[8:9], v[142:143], -v[2:3]
	v_mul_f64 v[2:3], v[14:15], v[152:153]
	v_fmac_f64_e32 v[22:23], v[12:13], v[152:153]
	v_fma_f64 v[32:33], v[12:13], v[154:155], -v[2:3]
	v_accvgpr_read_b32 v12, a102
	v_accvgpr_read_b32 v14, a104
	;; [unrolled: 1-line block ×5, first 2 shown]
	v_mul_f64 v[20:21], v[10:11], v[142:143]
	v_accvgpr_read_b32 v13, a103
	v_accvgpr_read_b32 v38, a124
	v_accvgpr_read_b32 v39, a125
	v_mul_f64 v[10:11], v[14:15], v[136:137]
	v_accvgpr_read_b32 v50, a100
	v_accvgpr_read_b32 v51, a101
	;; [unrolled: 1-line block ×3, first 2 shown]
	v_mul_f64 v[30:31], v[14:15], v[138:139]
	v_accvgpr_read_b32 v37, a123
	v_mul_f64 v[28:29], v[38:39], v[158:159]
	v_fma_f64 v[42:43], v[12:13], v[138:139], -v[10:11]
	v_mul_f64 v[10:11], v[38:39], v[156:157]
	v_accvgpr_read_b32 v49, a99
	v_accvgpr_read_b32 v58, a146
	;; [unrolled: 1-line block ×3, first 2 shown]
	v_mul_f64 v[14:15], v[50:51], v[132:133]
	v_accvgpr_read_b32 v70, a94
	v_accvgpr_read_b32 v94, a130
	v_fmac_f64_e32 v[28:29], v[36:37], v[156:157]
	v_fma_f64 v[40:41], v[36:37], v[158:159], -v[10:11]
	v_mul_f64 v[38:39], v[50:51], v[134:135]
	v_accvgpr_read_b32 v57, a145
	v_mul_f64 v[36:37], v[58:59], v[162:163]
	v_fma_f64 v[52:53], v[48:49], v[134:135], -v[14:15]
	v_mul_f64 v[14:15], v[58:59], v[160:161]
	v_accvgpr_read_b32 v72, a96
	v_accvgpr_read_b32 v73, a97
	;; [unrolled: 1-line block ×4, first 2 shown]
	v_fmac_f64_e32 v[38:39], v[48:49], v[132:133]
	v_fmac_f64_e32 v[36:37], v[56:57], v[160:161]
	v_fma_f64 v[50:51], v[56:57], v[162:163], -v[14:15]
	v_accvgpr_read_b32 v71, a95
	v_mul_f64 v[48:49], v[72:73], v[90:91]
	v_accvgpr_read_b32 v95, a131
	v_mul_f64 v[44:45], v[96:97], v[82:83]
	v_mul_f64 v[56:57], v[72:73], v[88:89]
	v_fmac_f64_e32 v[48:49], v[70:71], v[88:89]
	v_fmac_f64_e32 v[44:45], v[94:95], v[80:81]
	v_fma_f64 v[58:59], v[70:71], v[90:91], -v[56:57]
	v_mul_f64 v[56:57], v[96:97], v[80:81]
	v_add_f64 v[76:77], v[48:49], -v[44:45]
	v_fma_f64 v[56:57], v[94:95], v[82:83], -v[56:57]
	v_fmac_f64_e32 v[30:31], v[12:13], v[136:137]
	v_add_f64 v[92:93], v[38:39], -v[36:37]
	v_mul_f64 v[98:99], v[76:77], s[30:31]
	v_add_f64 v[70:71], v[58:59], v[56:57]
	v_accvgpr_read_b32 v7, a135
	v_fmac_f64_e32 v[20:21], v[8:9], v[140:141]
	v_add_f64 v[68:69], v[30:31], -v[28:29]
	v_mul_f64 v[12:13], v[92:93], s[28:29]
	v_add_f64 v[64:65], v[52:53], v[50:51]
	v_fma_f64 v[72:73], s[26:27], v[70:71], v[98:99]
	v_fma_f64 v[98:99], v[70:71], s[26:27], -v[98:99]
	v_fmac_f64_e32 v[18:19], v[6:7], v[148:149]
	v_add_f64 v[66:67], v[20:21], -v[22:23]
	v_mul_f64 v[8:9], v[68:69], s[24:25]
	v_add_f64 v[60:61], v[42:43], v[40:41]
	v_fma_f64 v[14:15], s[0:1], v[64:65], v[12:13]
	v_fma_f64 v[12:13], v[64:65], s[0:1], -v[12:13]
	v_add_f64 v[98:99], v[86:87], v[98:99]
	v_add_f64 v[62:63], v[16:17], -v[18:19]
	v_fma_f64 v[26:27], v[6:7], v[150:151], -v[0:1]
	v_mul_f64 v[6:7], v[66:67], s[36:37]
	v_add_f64 v[54:55], v[34:35], v[32:33]
	v_fma_f64 v[10:11], s[22:23], v[60:61], v[8:9]
	v_add_f64 v[116:117], v[58:59], -v[56:57]
	v_fma_f64 v[8:9], v[60:61], s[22:23], -v[8:9]
	v_add_f64 v[12:13], v[12:13], v[98:99]
	v_mul_f64 v[4:5], v[62:63], s[20:21]
	v_add_f64 v[46:47], v[24:25], v[26:27]
	v_fma_f64 v[2:3], s[14:15], v[54:55], v[6:7]
	v_add_f64 v[114:115], v[52:53], -v[50:51]
	v_add_f64 v[88:89], v[48:49], v[44:45]
	v_mul_f64 v[110:111], v[116:117], s[30:31]
	v_fma_f64 v[6:7], v[54:55], s[14:15], -v[6:7]
	v_add_f64 v[8:9], v[8:9], v[12:13]
	v_fma_f64 v[0:1], s[18:19], v[46:47], v[4:5]
	v_add_f64 v[72:73], v[86:87], v[72:73]
	v_add_f64 v[96:97], v[42:43], -v[40:41]
	v_add_f64 v[82:83], v[38:39], v[36:37]
	v_mul_f64 v[106:107], v[114:115], s[28:29]
	v_fma_f64 v[112:113], v[88:89], s[26:27], -v[110:111]
	v_fma_f64 v[4:5], v[46:47], s[18:19], -v[4:5]
	v_add_f64 v[6:7], v[6:7], v[8:9]
	v_fmac_f64_e32 v[110:111], s[26:27], v[88:89]
	v_add_f64 v[14:15], v[14:15], v[72:73]
	v_add_f64 v[94:95], v[34:35], -v[32:33]
	v_add_f64 v[80:81], v[30:31], v[28:29]
	v_mul_f64 v[102:103], v[96:97], s[24:25]
	v_fma_f64 v[108:109], v[82:83], s[0:1], -v[106:107]
	v_add_f64 v[112:113], v[84:85], v[112:113]
	v_add_f64 v[6:7], v[4:5], v[6:7]
	v_fmac_f64_e32 v[106:107], s[0:1], v[82:83]
	v_add_f64 v[4:5], v[84:85], v[110:111]
	v_add_f64 v[10:11], v[10:11], v[14:15]
	v_add_f64 v[90:91], v[24:25], -v[26:27]
	v_add_f64 v[74:75], v[20:21], v[22:23]
	v_mul_f64 v[14:15], v[94:95], s[36:37]
	v_fma_f64 v[104:105], v[80:81], s[22:23], -v[102:103]
	v_add_f64 v[108:109], v[108:109], v[112:113]
	v_fmac_f64_e32 v[102:103], s[22:23], v[80:81]
	v_add_f64 v[4:5], v[106:107], v[4:5]
	v_mul_f64 v[106:107], v[76:77], s[24:25]
	v_add_f64 v[2:3], v[2:3], v[10:11]
	v_add_f64 v[72:73], v[16:17], v[18:19]
	v_mul_f64 v[10:11], v[90:91], s[20:21]
	v_fma_f64 v[100:101], v[74:75], s[14:15], -v[14:15]
	v_add_f64 v[104:105], v[104:105], v[108:109]
	v_add_f64 v[4:5], v[102:103], v[4:5]
	v_mul_f64 v[102:103], v[92:93], s[34:35]
	v_fma_f64 v[108:109], s[22:23], v[70:71], v[106:107]
	v_fma_f64 v[106:107], v[70:71], s[22:23], -v[106:107]
	v_add_f64 v[2:3], v[0:1], v[2:3]
	v_fma_f64 v[0:1], v[72:73], s[18:19], -v[10:11]
	v_add_f64 v[100:101], v[100:101], v[104:105]
	v_fmac_f64_e32 v[14:15], s[14:15], v[74:75]
	v_mul_f64 v[98:99], v[68:69], s[6:7]
	v_fma_f64 v[104:105], s[18:19], v[64:65], v[102:103]
	v_fma_f64 v[102:103], v[64:65], s[18:19], -v[102:103]
	v_add_f64 v[106:107], v[86:87], v[106:107]
	v_add_f64 v[0:1], v[0:1], v[100:101]
	v_fmac_f64_e32 v[10:11], s[18:19], v[72:73]
	v_add_f64 v[4:5], v[14:15], v[4:5]
	v_mul_f64 v[14:15], v[66:67], s[30:31]
	v_fma_f64 v[100:101], s[0:1], v[60:61], v[98:99]
	v_fma_f64 v[98:99], v[60:61], s[0:1], -v[98:99]
	v_add_f64 v[102:103], v[102:103], v[106:107]
	v_add_f64 v[4:5], v[10:11], v[4:5]
	v_mul_f64 v[12:13], v[62:63], s[36:37]
	v_fma_f64 v[10:11], s[26:27], v[54:55], v[14:15]
	v_mul_f64 v[122:123], v[116:117], s[24:25]
	v_fma_f64 v[14:15], v[54:55], s[26:27], -v[14:15]
	v_add_f64 v[98:99], v[98:99], v[102:103]
	v_fma_f64 v[8:9], s[14:15], v[46:47], v[12:13]
	v_add_f64 v[108:109], v[86:87], v[108:109]
	v_mul_f64 v[118:119], v[114:115], s[34:35]
	v_fma_f64 v[124:125], v[88:89], s[22:23], -v[122:123]
	v_fma_f64 v[12:13], v[46:47], s[14:15], -v[12:13]
	v_add_f64 v[14:15], v[14:15], v[98:99]
	v_fmac_f64_e32 v[122:123], s[22:23], v[88:89]
	v_add_f64 v[104:105], v[104:105], v[108:109]
	v_mul_f64 v[110:111], v[96:97], s[6:7]
	v_fma_f64 v[120:121], v[82:83], s[18:19], -v[118:119]
	v_add_f64 v[124:125], v[84:85], v[124:125]
	v_add_f64 v[14:15], v[12:13], v[14:15]
	v_fmac_f64_e32 v[118:119], s[18:19], v[82:83]
	v_add_f64 v[12:13], v[84:85], v[122:123]
	v_add_f64 v[100:101], v[100:101], v[104:105]
	v_mul_f64 v[104:105], v[94:95], s[30:31]
	v_fma_f64 v[112:113], v[80:81], s[0:1], -v[110:111]
	v_add_f64 v[120:121], v[120:121], v[124:125]
	v_fmac_f64_e32 v[110:111], s[0:1], v[80:81]
	v_add_f64 v[12:13], v[118:119], v[12:13]
	v_mul_f64 v[118:119], v[76:77], s[20:21]
	v_add_f64 v[10:11], v[10:11], v[100:101]
	v_mul_f64 v[100:101], v[90:91], s[36:37]
	v_fma_f64 v[108:109], v[74:75], s[26:27], -v[104:105]
	v_add_f64 v[112:113], v[112:113], v[120:121]
	v_add_f64 v[12:13], v[110:111], v[12:13]
	v_mul_f64 v[110:111], v[92:93], s[38:39]
	v_fma_f64 v[120:121], s[18:19], v[70:71], v[118:119]
	v_fma_f64 v[118:119], v[70:71], s[18:19], -v[118:119]
	v_add_f64 v[10:11], v[8:9], v[10:11]
	v_fma_f64 v[8:9], v[72:73], s[14:15], -v[100:101]
	v_add_f64 v[108:109], v[108:109], v[112:113]
	v_fmac_f64_e32 v[104:105], s[26:27], v[74:75]
	v_mul_f64 v[106:107], v[68:69], s[36:37]
	v_fma_f64 v[112:113], s[26:27], v[64:65], v[110:111]
	v_fma_f64 v[110:111], v[64:65], s[26:27], -v[110:111]
	v_add_f64 v[118:119], v[86:87], v[118:119]
	v_add_f64 v[8:9], v[8:9], v[108:109]
	v_fmac_f64_e32 v[100:101], s[14:15], v[72:73]
	v_add_f64 v[12:13], v[104:105], v[12:13]
	v_mul_f64 v[104:105], v[66:67], s[6:7]
	v_fma_f64 v[108:109], s[14:15], v[60:61], v[106:107]
	v_fma_f64 v[106:107], v[60:61], s[14:15], -v[106:107]
	v_add_f64 v[110:111], v[110:111], v[118:119]
	v_add_f64 v[12:13], v[100:101], v[12:13]
	v_mul_f64 v[102:103], v[62:63], s[24:25]
	v_fma_f64 v[100:101], s[0:1], v[54:55], v[104:105]
	v_mul_f64 v[130:131], v[116:117], s[20:21]
	v_fma_f64 v[104:105], v[54:55], s[0:1], -v[104:105]
	v_add_f64 v[106:107], v[106:107], v[110:111]
	v_fma_f64 v[98:99], s[22:23], v[46:47], v[102:103]
	v_add_f64 v[120:121], v[86:87], v[120:121]
	v_mul_f64 v[126:127], v[114:115], s[38:39]
	v_fma_f64 v[132:133], v[88:89], s[18:19], -v[130:131]
	v_fma_f64 v[102:103], v[46:47], s[22:23], -v[102:103]
	v_add_f64 v[104:105], v[104:105], v[106:107]
	v_fmac_f64_e32 v[130:131], s[18:19], v[88:89]
	v_add_f64 v[112:113], v[112:113], v[120:121]
	v_mul_f64 v[122:123], v[96:97], s[36:37]
	v_fma_f64 v[128:129], v[82:83], s[26:27], -v[126:127]
	v_add_f64 v[132:133], v[84:85], v[132:133]
	v_add_f64 v[104:105], v[102:103], v[104:105]
	v_fmac_f64_e32 v[126:127], s[26:27], v[82:83]
	v_add_f64 v[102:103], v[84:85], v[130:131]
	v_add_f64 v[108:109], v[108:109], v[112:113]
	v_mul_f64 v[112:113], v[94:95], s[6:7]
	v_fma_f64 v[124:125], v[80:81], s[14:15], -v[122:123]
	v_add_f64 v[128:129], v[128:129], v[132:133]
	v_fmac_f64_e32 v[122:123], s[14:15], v[80:81]
	v_add_f64 v[102:103], v[126:127], v[102:103]
	v_mul_f64 v[126:127], v[76:77], s[16:17]
	v_add_f64 v[100:101], v[100:101], v[108:109]
	v_mul_f64 v[108:109], v[90:91], s[24:25]
	v_fma_f64 v[120:121], v[74:75], s[0:1], -v[112:113]
	v_add_f64 v[124:125], v[124:125], v[128:129]
	v_add_f64 v[102:103], v[122:123], v[102:103]
	v_mul_f64 v[122:123], v[92:93], s[24:25]
	v_fma_f64 v[128:129], s[14:15], v[70:71], v[126:127]
	v_fma_f64 v[126:127], v[70:71], s[14:15], -v[126:127]
	v_add_f64 v[100:101], v[98:99], v[100:101]
	v_fma_f64 v[98:99], v[72:73], s[22:23], -v[108:109]
	v_add_f64 v[120:121], v[120:121], v[124:125]
	v_fmac_f64_e32 v[112:113], s[0:1], v[74:75]
	v_mul_f64 v[118:119], v[68:69], s[38:39]
	v_fma_f64 v[124:125], s[22:23], v[64:65], v[122:123]
	v_fma_f64 v[122:123], v[64:65], s[22:23], -v[122:123]
	v_add_f64 v[126:127], v[86:87], v[126:127]
	v_add_f64 v[98:99], v[98:99], v[120:121]
	v_fmac_f64_e32 v[108:109], s[22:23], v[72:73]
	v_add_f64 v[102:103], v[112:113], v[102:103]
	v_mul_f64 v[112:113], v[66:67], s[34:35]
	v_fma_f64 v[120:121], s[26:27], v[60:61], v[118:119]
	v_fma_f64 v[118:119], v[60:61], s[26:27], -v[118:119]
	v_add_f64 v[122:123], v[122:123], v[126:127]
	v_add_f64 v[102:103], v[108:109], v[102:103]
	v_mul_f64 v[110:111], v[62:63], s[28:29]
	v_fma_f64 v[108:109], s[18:19], v[54:55], v[112:113]
	v_mul_f64 v[138:139], v[116:117], s[16:17]
	v_fma_f64 v[112:113], v[54:55], s[18:19], -v[112:113]
	v_add_f64 v[118:119], v[118:119], v[122:123]
	v_fma_f64 v[106:107], s[0:1], v[46:47], v[110:111]
	v_add_f64 v[128:129], v[86:87], v[128:129]
	v_mul_f64 v[134:135], v[114:115], s[24:25]
	v_fma_f64 v[140:141], v[88:89], s[14:15], -v[138:139]
	v_fma_f64 v[110:111], v[46:47], s[0:1], -v[110:111]
	v_add_f64 v[112:113], v[112:113], v[118:119]
	v_fmac_f64_e32 v[138:139], s[14:15], v[88:89]
	v_add_f64 v[124:125], v[124:125], v[128:129]
	v_mul_f64 v[130:131], v[96:97], s[38:39]
	v_fma_f64 v[136:137], v[82:83], s[22:23], -v[134:135]
	v_add_f64 v[112:113], v[110:111], v[112:113]
	v_fmac_f64_e32 v[134:135], s[22:23], v[82:83]
	v_add_f64 v[110:111], v[84:85], v[138:139]
	v_add_f64 v[120:121], v[120:121], v[124:125]
	v_mul_f64 v[124:125], v[94:95], s[34:35]
	v_fma_f64 v[132:133], v[80:81], s[26:27], -v[130:131]
	v_fmac_f64_e32 v[130:131], s[26:27], v[80:81]
	v_add_f64 v[110:111], v[134:135], v[110:111]
	v_fma_f64 v[128:129], v[74:75], s[18:19], -v[124:125]
	v_fmac_f64_e32 v[124:125], s[18:19], v[74:75]
	v_add_f64 v[110:111], v[130:131], v[110:111]
	v_mul_f64 v[62:63], v[62:63], s[30:31]
	v_mul_f64 v[92:93], v[92:93], s[16:17]
	;; [unrolled: 1-line block ×3, first 2 shown]
	v_add_f64 v[108:109], v[108:109], v[120:121]
	v_mul_f64 v[120:121], v[90:91], s[28:29]
	v_add_f64 v[140:141], v[84:85], v[140:141]
	v_add_f64 v[110:111], v[124:125], v[110:111]
	v_fma_f64 v[118:119], s[26:27], v[46:47], v[62:63]
	v_fma_f64 v[124:125], s[14:15], v[64:65], v[92:93]
	v_fma_f64 v[46:47], v[46:47], s[26:27], -v[62:63]
	v_fma_f64 v[62:63], v[64:65], s[14:15], -v[92:93]
	;; [unrolled: 1-line block ×3, first 2 shown]
	v_add_f64 v[108:109], v[106:107], v[108:109]
	v_fma_f64 v[106:107], v[72:73], s[0:1], -v[120:121]
	v_add_f64 v[136:137], v[136:137], v[140:141]
	v_fmac_f64_e32 v[120:121], s[0:1], v[72:73]
	v_mul_f64 v[122:123], v[68:69], s[20:21]
	v_add_f64 v[64:65], v[86:87], v[64:65]
	v_add_f64 v[132:133], v[132:133], v[136:137]
	;; [unrolled: 1-line block ×3, first 2 shown]
	v_mul_f64 v[120:121], v[66:67], s[24:25]
	v_fma_f64 v[68:69], s[18:19], v[60:61], v[122:123]
	v_fma_f64 v[126:127], s[0:1], v[70:71], v[76:77]
	v_fma_f64 v[60:61], v[60:61], s[18:19], -v[122:123]
	v_add_f64 v[62:63], v[62:63], v[64:65]
	v_add_f64 v[128:129], v[128:129], v[132:133]
	v_fma_f64 v[66:67], s[22:23], v[54:55], v[120:121]
	v_add_f64 v[126:127], v[86:87], v[126:127]
	v_mul_f64 v[116:117], v[116:117], s[6:7]
	v_fma_f64 v[54:55], v[54:55], s[22:23], -v[120:121]
	v_add_f64 v[60:61], v[60:61], v[62:63]
	v_add_f64 v[106:107], v[106:107], v[128:129]
	;; [unrolled: 1-line block ×3, first 2 shown]
	v_mul_f64 v[114:115], v[114:115], s[16:17]
	v_fma_f64 v[128:129], v[88:89], s[0:1], -v[116:117]
	v_add_f64 v[54:55], v[54:55], v[60:61]
	v_fmac_f64_e32 v[116:117], s[0:1], v[88:89]
	v_add_f64 v[68:69], v[68:69], v[124:125]
	v_mul_f64 v[96:97], v[96:97], s[20:21]
	v_fma_f64 v[126:127], v[82:83], s[14:15], -v[114:115]
	v_add_f64 v[62:63], v[46:47], v[54:55]
	v_fmac_f64_e32 v[114:115], s[14:15], v[82:83]
	v_add_f64 v[46:47], v[84:85], v[116:117]
	v_add_f64 v[66:67], v[66:67], v[68:69]
	v_mul_f64 v[94:95], v[94:95], s[24:25]
	v_fma_f64 v[124:125], v[80:81], s[18:19], -v[96:97]
	v_fmac_f64_e32 v[96:97], s[18:19], v[80:81]
	v_add_f64 v[46:47], v[114:115], v[46:47]
	v_add_f64 v[68:69], v[118:119], v[66:67]
	v_mul_f64 v[90:91], v[90:91], s[30:31]
	v_fma_f64 v[118:119], v[74:75], s[22:23], -v[94:95]
	v_fmac_f64_e32 v[94:95], s[22:23], v[74:75]
	v_add_f64 v[46:47], v[96:97], v[46:47]
	v_fma_f64 v[66:67], v[72:73], s[26:27], -v[90:91]
	v_fmac_f64_e32 v[90:91], s[26:27], v[72:73]
	v_add_f64 v[46:47], v[94:95], v[46:47]
	v_add_f64 v[60:61], v[90:91], v[46:47]
	;; [unrolled: 1-line block ×27, first 2 shown]
	ds_write_b128 v78, v[22:25] offset:704
	ds_write_b128 v78, v[60:63] offset:2048
	;; [unrolled: 1-line block ×11, first 2 shown]
.LBB0_29:
	s_or_b64 exec, exec, s[40:41]
	s_waitcnt lgkmcnt(0)
	; wave barrier
	s_waitcnt lgkmcnt(0)
	ds_read_b128 v[0:3], v78
	v_mad_u64_u32 v[14:15], s[0:1], s10, v206, 0
	v_mov_b32_e32 v4, v15
	v_mad_u64_u32 v[4:5], s[0:1], s11, v206, v[4:5]
	v_mov_b32_e32 v15, v4
	ds_read_b128 v[4:7], v78 offset:704
	s_waitcnt lgkmcnt(1)
	v_mul_f64 v[8:9], v[188:189], v[2:3]
	v_fmac_f64_e32 v[8:9], v[186:187], v[0:1]
	s_mov_b32 s0, 0x4046ed29
	v_mul_f64 v[0:1], v[188:189], v[0:1]
	s_mov_b32 s1, 0x3f51bb4a
	v_fma_f64 v[0:1], v[186:187], v[2:3], -v[0:1]
	v_mad_u64_u32 v[16:17], s[2:3], s8, v180, 0
	v_mul_f64 v[10:11], v[0:1], s[0:1]
	v_mov_b32_e32 v0, v17
	v_mad_u64_u32 v[0:1], s[2:3], s9, v180, v[0:1]
	v_mov_b32_e32 v17, v0
	ds_read_b128 v[0:3], v78 offset:7392
	v_mov_b32_e32 v12, s12
	v_mov_b32_e32 v13, s13
	v_lshl_add_u64 v[12:13], v[14:15], 4, v[12:13]
	v_mul_f64 v[8:9], v[8:9], s[0:1]
	v_lshl_add_u64 v[16:17], v[16:17], 4, v[12:13]
	global_store_dwordx4 v[16:17], v[8:11], off
	ds_read_b128 v[8:11], v78 offset:8096
	s_waitcnt lgkmcnt(1)
	v_mul_f64 v[12:13], v[184:185], v[2:3]
	s_mul_i32 s2, s9, 0x1ce
	s_mul_hi_u32 s3, s8, 0x1ce
	v_fmac_f64_e32 v[12:13], v[182:183], v[0:1]
	v_mul_f64 v[0:1], v[184:185], v[0:1]
	s_add_i32 s3, s3, s2
	s_mul_i32 s2, s8, 0x1ce
	v_fma_f64 v[0:1], v[182:183], v[2:3], -v[0:1]
	s_lshl_b64 s[10:11], s[2:3], 4
	v_mul_f64 v[12:13], v[12:13], s[0:1]
	v_mul_f64 v[14:15], v[0:1], s[0:1]
	v_lshl_add_u64 v[16:17], v[16:17], 0, s[10:11]
	global_store_dwordx4 v[16:17], v[12:15], off
	s_mul_hi_u32 s7, s8, 0xfffffe5e
	s_mul_i32 s6, s9, 0xfffffe5e
	v_accvgpr_read_b32 v12, a40
	v_accvgpr_read_b32 v14, a42
	;; [unrolled: 1-line block ×3, first 2 shown]
	s_sub_i32 s7, s7, s8
	v_accvgpr_read_b32 v13, a41
	v_mul_f64 v[0:1], v[14:15], v[6:7]
	v_mul_f64 v[2:3], v[14:15], v[4:5]
	s_add_i32 s7, s7, s6
	s_mul_i32 s6, s8, 0xfffffe5e
	v_fmac_f64_e32 v[0:1], v[12:13], v[4:5]
	v_fma_f64 v[2:3], v[12:13], v[6:7], -v[2:3]
	s_lshl_b64 s[8:9], s[6:7], 4
	v_accvgpr_read_b32 v4, a48
	v_mul_f64 v[0:1], v[0:1], s[0:1]
	v_mul_f64 v[2:3], v[2:3], s[0:1]
	v_lshl_add_u64 v[12:13], v[16:17], 0, s[8:9]
	v_accvgpr_read_b32 v6, a50
	v_accvgpr_read_b32 v7, a51
	global_store_dwordx4 v[12:13], v[0:3], off
	v_accvgpr_read_b32 v5, a49
	v_accvgpr_read_b32 v14, a44
	s_waitcnt lgkmcnt(0)
	v_mul_f64 v[0:1], v[6:7], v[10:11]
	v_mul_f64 v[2:3], v[6:7], v[8:9]
	v_fmac_f64_e32 v[0:1], v[4:5], v[8:9]
	v_fma_f64 v[2:3], v[4:5], v[10:11], -v[2:3]
	ds_read_b128 v[4:7], v78 offset:1408
	v_mul_f64 v[0:1], v[0:1], s[0:1]
	v_mul_f64 v[2:3], v[2:3], s[0:1]
	v_lshl_add_u64 v[12:13], v[12:13], 0, s[10:11]
	v_accvgpr_read_b32 v16, a46
	v_accvgpr_read_b32 v17, a47
	global_store_dwordx4 v[12:13], v[0:3], off
	ds_read_b128 v[0:3], v78 offset:2112
	v_accvgpr_read_b32 v15, a45
	s_waitcnt lgkmcnt(1)
	v_mul_f64 v[8:9], v[16:17], v[6:7]
	v_fmac_f64_e32 v[8:9], v[14:15], v[4:5]
	v_mul_f64 v[4:5], v[16:17], v[4:5]
	v_fma_f64 v[10:11], v[14:15], v[6:7], -v[4:5]
	ds_read_b128 v[4:7], v78 offset:8800
	v_mul_f64 v[8:9], v[8:9], s[0:1]
	v_mul_f64 v[10:11], v[10:11], s[0:1]
	v_lshl_add_u64 v[16:17], v[12:13], 0, s[8:9]
	global_store_dwordx4 v[16:17], v[8:11], off
	ds_read_b128 v[8:11], v78 offset:9504
	s_waitcnt lgkmcnt(1)
	v_mul_f64 v[12:13], v[196:197], v[6:7]
	v_fmac_f64_e32 v[12:13], v[194:195], v[4:5]
	v_mul_f64 v[4:5], v[196:197], v[4:5]
	v_fma_f64 v[4:5], v[194:195], v[6:7], -v[4:5]
	v_mul_f64 v[12:13], v[12:13], s[0:1]
	v_mul_f64 v[14:15], v[4:5], s[0:1]
	v_lshl_add_u64 v[16:17], v[16:17], 0, s[10:11]
	global_store_dwordx4 v[16:17], v[12:15], off
	v_accvgpr_read_b32 v18, a52
	v_accvgpr_read_b32 v20, a54
	;; [unrolled: 1-line block ×6, first 2 shown]
	v_mul_f64 v[4:5], v[14:15], v[2:3]
	v_fmac_f64_e32 v[4:5], v[12:13], v[0:1]
	v_mul_f64 v[0:1], v[14:15], v[0:1]
	v_fma_f64 v[0:1], v[12:13], v[2:3], -v[0:1]
	v_mul_f64 v[4:5], v[4:5], s[0:1]
	v_mul_f64 v[6:7], v[0:1], s[0:1]
	v_lshl_add_u64 v[12:13], v[16:17], 0, s[8:9]
	global_store_dwordx4 v[12:13], v[4:7], off
	v_lshl_add_u64 v[12:13], v[12:13], 0, s[10:11]
	v_lshl_add_u64 v[16:17], v[12:13], 0, s[8:9]
	v_accvgpr_read_b32 v4, a60
	v_accvgpr_read_b32 v6, a62
	;; [unrolled: 1-line block ×4, first 2 shown]
	s_waitcnt lgkmcnt(0)
	v_mul_f64 v[0:1], v[6:7], v[10:11]
	v_mul_f64 v[2:3], v[6:7], v[8:9]
	v_fmac_f64_e32 v[0:1], v[4:5], v[8:9]
	v_fma_f64 v[2:3], v[4:5], v[10:11], -v[2:3]
	ds_read_b128 v[4:7], v78 offset:2816
	v_mul_f64 v[0:1], v[0:1], s[0:1]
	v_mul_f64 v[2:3], v[2:3], s[0:1]
	global_store_dwordx4 v[12:13], v[0:3], off
	ds_read_b128 v[0:3], v78 offset:3520
	s_waitcnt lgkmcnt(1)
	v_mul_f64 v[8:9], v[200:201], v[6:7]
	v_fmac_f64_e32 v[8:9], v[198:199], v[4:5]
	v_mul_f64 v[4:5], v[200:201], v[4:5]
	v_fma_f64 v[10:11], v[198:199], v[6:7], -v[4:5]
	ds_read_b128 v[4:7], v78 offset:10208
	v_mul_f64 v[8:9], v[8:9], s[0:1]
	v_mul_f64 v[10:11], v[10:11], s[0:1]
	v_accvgpr_read_b32 v21, a55
	global_store_dwordx4 v[16:17], v[8:11], off
	ds_read_b128 v[8:11], v78 offset:10912
	v_accvgpr_read_b32 v19, a53
	s_waitcnt lgkmcnt(1)
	v_mul_f64 v[12:13], v[20:21], v[6:7]
	v_fmac_f64_e32 v[12:13], v[18:19], v[4:5]
	v_mul_f64 v[4:5], v[20:21], v[4:5]
	v_fma_f64 v[4:5], v[18:19], v[6:7], -v[4:5]
	v_mul_f64 v[12:13], v[12:13], s[0:1]
	v_mul_f64 v[14:15], v[4:5], s[0:1]
	v_lshl_add_u64 v[16:17], v[16:17], 0, s[10:11]
	global_store_dwordx4 v[16:17], v[12:15], off
	s_nop 1
	v_accvgpr_read_b32 v12, a32
	v_accvgpr_read_b32 v14, a34
	;; [unrolled: 1-line block ×4, first 2 shown]
	v_mul_f64 v[4:5], v[14:15], v[2:3]
	v_fmac_f64_e32 v[4:5], v[12:13], v[0:1]
	v_mul_f64 v[0:1], v[14:15], v[0:1]
	v_fma_f64 v[0:1], v[12:13], v[2:3], -v[0:1]
	v_mul_f64 v[4:5], v[4:5], s[0:1]
	v_mul_f64 v[6:7], v[0:1], s[0:1]
	v_lshl_add_u64 v[12:13], v[16:17], 0, s[8:9]
	global_store_dwordx4 v[12:13], v[4:7], off
	v_accvgpr_read_b32 v14, a80
	v_lshl_add_u64 v[12:13], v[12:13], 0, s[10:11]
	v_accvgpr_read_b32 v4, a56
	v_accvgpr_read_b32 v6, a58
	;; [unrolled: 1-line block ×4, first 2 shown]
	s_waitcnt lgkmcnt(0)
	v_mul_f64 v[0:1], v[6:7], v[10:11]
	v_mul_f64 v[2:3], v[6:7], v[8:9]
	v_fmac_f64_e32 v[0:1], v[4:5], v[8:9]
	v_fma_f64 v[2:3], v[4:5], v[10:11], -v[2:3]
	ds_read_b128 v[4:7], v78 offset:4224
	v_mul_f64 v[0:1], v[0:1], s[0:1]
	v_mul_f64 v[2:3], v[2:3], s[0:1]
	v_accvgpr_read_b32 v16, a82
	v_accvgpr_read_b32 v17, a83
	global_store_dwordx4 v[12:13], v[0:3], off
	ds_read_b128 v[0:3], v78 offset:4928
	v_accvgpr_read_b32 v15, a81
	s_waitcnt lgkmcnt(1)
	v_mul_f64 v[8:9], v[16:17], v[6:7]
	v_fmac_f64_e32 v[8:9], v[14:15], v[4:5]
	v_mul_f64 v[4:5], v[16:17], v[4:5]
	v_fma_f64 v[10:11], v[14:15], v[6:7], -v[4:5]
	ds_read_b128 v[4:7], v78 offset:11616
	v_mul_f64 v[8:9], v[8:9], s[0:1]
	v_mul_f64 v[10:11], v[10:11], s[0:1]
	v_lshl_add_u64 v[16:17], v[12:13], 0, s[8:9]
	global_store_dwordx4 v[16:17], v[8:11], off
	ds_read_b128 v[8:11], v78 offset:12320
	s_waitcnt lgkmcnt(1)
	v_mul_f64 v[12:13], v[192:193], v[6:7]
	v_fmac_f64_e32 v[12:13], v[190:191], v[4:5]
	v_mul_f64 v[4:5], v[192:193], v[4:5]
	v_fma_f64 v[4:5], v[190:191], v[6:7], -v[4:5]
	v_mul_f64 v[12:13], v[12:13], s[0:1]
	v_mul_f64 v[14:15], v[4:5], s[0:1]
	v_lshl_add_u64 v[16:17], v[16:17], 0, s[10:11]
	global_store_dwordx4 v[16:17], v[12:15], off
	s_nop 1
	v_accvgpr_read_b32 v12, a64
	v_accvgpr_read_b32 v14, a66
	;; [unrolled: 1-line block ×4, first 2 shown]
	v_mul_f64 v[4:5], v[14:15], v[2:3]
	v_fmac_f64_e32 v[4:5], v[12:13], v[0:1]
	v_mul_f64 v[0:1], v[14:15], v[0:1]
	v_fma_f64 v[0:1], v[12:13], v[2:3], -v[0:1]
	v_mul_f64 v[4:5], v[4:5], s[0:1]
	v_mul_f64 v[6:7], v[0:1], s[0:1]
	v_lshl_add_u64 v[12:13], v[16:17], 0, s[8:9]
	global_store_dwordx4 v[12:13], v[4:7], off
	v_accvgpr_read_b32 v14, a28
	v_lshl_add_u64 v[12:13], v[12:13], 0, s[10:11]
	v_accvgpr_read_b32 v4, a72
	v_accvgpr_read_b32 v6, a74
	;; [unrolled: 1-line block ×4, first 2 shown]
	s_waitcnt lgkmcnt(0)
	v_mul_f64 v[0:1], v[6:7], v[10:11]
	v_mul_f64 v[2:3], v[6:7], v[8:9]
	v_fmac_f64_e32 v[0:1], v[4:5], v[8:9]
	v_fma_f64 v[2:3], v[4:5], v[10:11], -v[2:3]
	ds_read_b128 v[4:7], v78 offset:5632
	v_mul_f64 v[0:1], v[0:1], s[0:1]
	v_mul_f64 v[2:3], v[2:3], s[0:1]
	v_accvgpr_read_b32 v16, a30
	v_accvgpr_read_b32 v17, a31
	global_store_dwordx4 v[12:13], v[0:3], off
	ds_read_b128 v[0:3], v78 offset:6336
	v_accvgpr_read_b32 v15, a29
	s_waitcnt lgkmcnt(1)
	v_mul_f64 v[8:9], v[16:17], v[6:7]
	v_fmac_f64_e32 v[8:9], v[14:15], v[4:5]
	v_mul_f64 v[4:5], v[16:17], v[4:5]
	v_fma_f64 v[10:11], v[14:15], v[6:7], -v[4:5]
	ds_read_b128 v[4:7], v78 offset:13024
	v_mul_f64 v[8:9], v[8:9], s[0:1]
	v_mul_f64 v[10:11], v[10:11], s[0:1]
	v_lshl_add_u64 v[16:17], v[12:13], 0, s[8:9]
	global_store_dwordx4 v[16:17], v[8:11], off
	ds_read_b128 v[8:11], v78 offset:13728
	s_waitcnt lgkmcnt(1)
	v_mul_f64 v[12:13], v[204:205], v[6:7]
	v_fmac_f64_e32 v[12:13], v[202:203], v[4:5]
	v_mul_f64 v[4:5], v[204:205], v[4:5]
	v_fma_f64 v[4:5], v[202:203], v[6:7], -v[4:5]
	v_mul_f64 v[12:13], v[12:13], s[0:1]
	v_mul_f64 v[14:15], v[4:5], s[0:1]
	v_lshl_add_u64 v[16:17], v[16:17], 0, s[10:11]
	global_store_dwordx4 v[16:17], v[12:15], off
	s_nop 1
	v_accvgpr_read_b32 v12, a68
	v_accvgpr_read_b32 v14, a70
	;; [unrolled: 1-line block ×4, first 2 shown]
	v_mul_f64 v[4:5], v[14:15], v[2:3]
	v_fmac_f64_e32 v[4:5], v[12:13], v[0:1]
	v_mul_f64 v[0:1], v[14:15], v[0:1]
	v_fma_f64 v[0:1], v[12:13], v[2:3], -v[0:1]
	v_accvgpr_read_b32 v12, a76
	v_mul_f64 v[4:5], v[4:5], s[0:1]
	v_mul_f64 v[6:7], v[0:1], s[0:1]
	v_lshl_add_u64 v[0:1], v[16:17], 0, s[8:9]
	v_accvgpr_read_b32 v14, a78
	v_accvgpr_read_b32 v15, a79
	global_store_dwordx4 v[0:1], v[4:7], off
	v_accvgpr_read_b32 v13, a77
	s_waitcnt lgkmcnt(0)
	v_mul_f64 v[2:3], v[14:15], v[10:11]
	v_mul_f64 v[4:5], v[14:15], v[8:9]
	v_fmac_f64_e32 v[2:3], v[12:13], v[8:9]
	v_fma_f64 v[4:5], v[12:13], v[10:11], -v[4:5]
	v_mul_f64 v[2:3], v[2:3], s[0:1]
	v_mul_f64 v[4:5], v[4:5], s[0:1]
	v_lshl_add_u64 v[0:1], v[0:1], 0, s[10:11]
	global_store_dwordx4 v[0:1], v[2:5], off
	s_and_b64 exec, exec, s[4:5]
	s_cbranch_execz .LBB0_31
; %bb.30:
	v_add_co_u32_e32 v2, vcc, 0x1000, v214
	v_lshl_add_u64 v[14:15], s[6:7], 4, v[0:1]
	s_nop 0
	v_addc_co_u32_e32 v3, vcc, 0, v215, vcc
	global_load_dwordx4 v[2:5], v[2:3], off offset:2944
	ds_read_b128 v[6:9], v78 offset:7040
	ds_read_b128 v[10:13], v78 offset:14432
	s_movk_i32 s4, 0x3000
	v_add_co_u32_e32 v16, vcc, s4, v214
	s_waitcnt vmcnt(0) lgkmcnt(1)
	v_mul_f64 v[0:1], v[8:9], v[4:5]
	v_mul_f64 v[4:5], v[6:7], v[4:5]
	v_fmac_f64_e32 v[0:1], v[6:7], v[2:3]
	v_fma_f64 v[2:3], v[2:3], v[8:9], -v[4:5]
	v_mul_f64 v[0:1], v[0:1], s[0:1]
	v_mul_f64 v[2:3], v[2:3], s[0:1]
	v_addc_co_u32_e32 v17, vcc, 0, v215, vcc
	global_store_dwordx4 v[14:15], v[0:3], off
	global_load_dwordx4 v[0:3], v[16:17], off offset:2144
	s_waitcnt vmcnt(0) lgkmcnt(0)
	v_mul_f64 v[4:5], v[12:13], v[2:3]
	v_mul_f64 v[2:3], v[10:11], v[2:3]
	v_fmac_f64_e32 v[4:5], v[10:11], v[0:1]
	v_fma_f64 v[2:3], v[0:1], v[12:13], -v[2:3]
	v_mul_f64 v[0:1], v[4:5], s[0:1]
	v_mul_f64 v[2:3], v[2:3], s[0:1]
	v_lshl_add_u64 v[4:5], s[2:3], 4, v[14:15]
	global_store_dwordx4 v[4:5], v[0:3], off
.LBB0_31:
	s_endpgm
	.section	.rodata,"a",@progbits
	.p2align	6, 0x0
	.amdhsa_kernel bluestein_single_fwd_len924_dim1_dp_op_CI_CI
		.amdhsa_group_segment_fixed_size 14784
		.amdhsa_private_segment_fixed_size 0
		.amdhsa_kernarg_size 104
		.amdhsa_user_sgpr_count 2
		.amdhsa_user_sgpr_dispatch_ptr 0
		.amdhsa_user_sgpr_queue_ptr 0
		.amdhsa_user_sgpr_kernarg_segment_ptr 1
		.amdhsa_user_sgpr_dispatch_id 0
		.amdhsa_user_sgpr_kernarg_preload_length 0
		.amdhsa_user_sgpr_kernarg_preload_offset 0
		.amdhsa_user_sgpr_private_segment_size 0
		.amdhsa_uses_dynamic_stack 0
		.amdhsa_enable_private_segment 0
		.amdhsa_system_sgpr_workgroup_id_x 1
		.amdhsa_system_sgpr_workgroup_id_y 0
		.amdhsa_system_sgpr_workgroup_id_z 0
		.amdhsa_system_sgpr_workgroup_info 0
		.amdhsa_system_vgpr_workitem_id 0
		.amdhsa_next_free_vgpr 494
		.amdhsa_next_free_sgpr 46
		.amdhsa_accum_offset 256
		.amdhsa_reserve_vcc 1
		.amdhsa_float_round_mode_32 0
		.amdhsa_float_round_mode_16_64 0
		.amdhsa_float_denorm_mode_32 3
		.amdhsa_float_denorm_mode_16_64 3
		.amdhsa_dx10_clamp 1
		.amdhsa_ieee_mode 1
		.amdhsa_fp16_overflow 0
		.amdhsa_tg_split 0
		.amdhsa_exception_fp_ieee_invalid_op 0
		.amdhsa_exception_fp_denorm_src 0
		.amdhsa_exception_fp_ieee_div_zero 0
		.amdhsa_exception_fp_ieee_overflow 0
		.amdhsa_exception_fp_ieee_underflow 0
		.amdhsa_exception_fp_ieee_inexact 0
		.amdhsa_exception_int_div_zero 0
	.end_amdhsa_kernel
	.text
.Lfunc_end0:
	.size	bluestein_single_fwd_len924_dim1_dp_op_CI_CI, .Lfunc_end0-bluestein_single_fwd_len924_dim1_dp_op_CI_CI
                                        ; -- End function
	.section	.AMDGPU.csdata,"",@progbits
; Kernel info:
; codeLenInByte = 33528
; NumSgprs: 52
; NumVgprs: 256
; NumAgprs: 238
; TotalNumVgprs: 494
; ScratchSize: 0
; MemoryBound: 0
; FloatMode: 240
; IeeeMode: 1
; LDSByteSize: 14784 bytes/workgroup (compile time only)
; SGPRBlocks: 6
; VGPRBlocks: 61
; NumSGPRsForWavesPerEU: 52
; NumVGPRsForWavesPerEU: 494
; AccumOffset: 256
; Occupancy: 1
; WaveLimiterHint : 1
; COMPUTE_PGM_RSRC2:SCRATCH_EN: 0
; COMPUTE_PGM_RSRC2:USER_SGPR: 2
; COMPUTE_PGM_RSRC2:TRAP_HANDLER: 0
; COMPUTE_PGM_RSRC2:TGID_X_EN: 1
; COMPUTE_PGM_RSRC2:TGID_Y_EN: 0
; COMPUTE_PGM_RSRC2:TGID_Z_EN: 0
; COMPUTE_PGM_RSRC2:TIDIG_COMP_CNT: 0
; COMPUTE_PGM_RSRC3_GFX90A:ACCUM_OFFSET: 63
; COMPUTE_PGM_RSRC3_GFX90A:TG_SPLIT: 0
	.text
	.p2alignl 6, 3212836864
	.fill 256, 4, 3212836864
	.type	__hip_cuid_1f37ea32d6738d9d,@object ; @__hip_cuid_1f37ea32d6738d9d
	.section	.bss,"aw",@nobits
	.globl	__hip_cuid_1f37ea32d6738d9d
__hip_cuid_1f37ea32d6738d9d:
	.byte	0                               ; 0x0
	.size	__hip_cuid_1f37ea32d6738d9d, 1

	.ident	"AMD clang version 19.0.0git (https://github.com/RadeonOpenCompute/llvm-project roc-6.4.0 25133 c7fe45cf4b819c5991fe208aaa96edf142730f1d)"
	.section	".note.GNU-stack","",@progbits
	.addrsig
	.addrsig_sym __hip_cuid_1f37ea32d6738d9d
	.amdgpu_metadata
---
amdhsa.kernels:
  - .agpr_count:     238
    .args:
      - .actual_access:  read_only
        .address_space:  global
        .offset:         0
        .size:           8
        .value_kind:     global_buffer
      - .actual_access:  read_only
        .address_space:  global
        .offset:         8
        .size:           8
        .value_kind:     global_buffer
      - .actual_access:  read_only
        .address_space:  global
        .offset:         16
        .size:           8
        .value_kind:     global_buffer
      - .actual_access:  read_only
        .address_space:  global
        .offset:         24
        .size:           8
        .value_kind:     global_buffer
      - .actual_access:  read_only
        .address_space:  global
        .offset:         32
        .size:           8
        .value_kind:     global_buffer
      - .offset:         40
        .size:           8
        .value_kind:     by_value
      - .address_space:  global
        .offset:         48
        .size:           8
        .value_kind:     global_buffer
      - .address_space:  global
        .offset:         56
        .size:           8
        .value_kind:     global_buffer
      - .address_space:  global
        .offset:         64
        .size:           8
        .value_kind:     global_buffer
      - .address_space:  global
        .offset:         72
        .size:           8
        .value_kind:     global_buffer
      - .offset:         80
        .size:           4
        .value_kind:     by_value
      - .address_space:  global
        .offset:         88
        .size:           8
        .value_kind:     global_buffer
      - .address_space:  global
        .offset:         96
        .size:           8
        .value_kind:     global_buffer
    .group_segment_fixed_size: 14784
    .kernarg_segment_align: 8
    .kernarg_segment_size: 104
    .language:       OpenCL C
    .language_version:
      - 2
      - 0
    .max_flat_workgroup_size: 44
    .name:           bluestein_single_fwd_len924_dim1_dp_op_CI_CI
    .private_segment_fixed_size: 0
    .sgpr_count:     52
    .sgpr_spill_count: 0
    .symbol:         bluestein_single_fwd_len924_dim1_dp_op_CI_CI.kd
    .uniform_work_group_size: 1
    .uses_dynamic_stack: false
    .vgpr_count:     494
    .vgpr_spill_count: 0
    .wavefront_size: 64
amdhsa.target:   amdgcn-amd-amdhsa--gfx950
amdhsa.version:
  - 1
  - 2
...

	.end_amdgpu_metadata
